;; amdgpu-corpus repo=pytorch/pytorch kind=compiled arch=gfx1250 opt=O3
	.amdgcn_target "amdgcn-amd-amdhsa--gfx1250"
	.amdhsa_code_object_version 6
	.section	.text._ZN2at6native12_GLOBAL__N_127upsample_linear1d_out_frameIddEEviT0_bN5torch10headeronly6detail27GenericPackedTensorAccessorINS6_14TensorAccessorIN3c108ArrayRefIlEEKT_Lm2ENS5_16DefaultPtrTraitsElEENS_6detail16IndexBoundsCheckILm3ElEESD_Lm3ESE_lEENS7_INS8_ISB_SC_Lm2ESE_lEESI_SC_Lm3ESE_lEE,"axG",@progbits,_ZN2at6native12_GLOBAL__N_127upsample_linear1d_out_frameIddEEviT0_bN5torch10headeronly6detail27GenericPackedTensorAccessorINS6_14TensorAccessorIN3c108ArrayRefIlEEKT_Lm2ENS5_16DefaultPtrTraitsElEENS_6detail16IndexBoundsCheckILm3ElEESD_Lm3ESE_lEENS7_INS8_ISB_SC_Lm2ESE_lEESI_SC_Lm3ESE_lEE,comdat
	.globl	_ZN2at6native12_GLOBAL__N_127upsample_linear1d_out_frameIddEEviT0_bN5torch10headeronly6detail27GenericPackedTensorAccessorINS6_14TensorAccessorIN3c108ArrayRefIlEEKT_Lm2ENS5_16DefaultPtrTraitsElEENS_6detail16IndexBoundsCheckILm3ElEESD_Lm3ESE_lEENS7_INS8_ISB_SC_Lm2ESE_lEESI_SC_Lm3ESE_lEE ; -- Begin function _ZN2at6native12_GLOBAL__N_127upsample_linear1d_out_frameIddEEviT0_bN5torch10headeronly6detail27GenericPackedTensorAccessorINS6_14TensorAccessorIN3c108ArrayRefIlEEKT_Lm2ENS5_16DefaultPtrTraitsElEENS_6detail16IndexBoundsCheckILm3ElEESD_Lm3ESE_lEENS7_INS8_ISB_SC_Lm2ESE_lEESI_SC_Lm3ESE_lEE
	.p2align	8
	.type	_ZN2at6native12_GLOBAL__N_127upsample_linear1d_out_frameIddEEviT0_bN5torch10headeronly6detail27GenericPackedTensorAccessorINS6_14TensorAccessorIN3c108ArrayRefIlEEKT_Lm2ENS5_16DefaultPtrTraitsElEENS_6detail16IndexBoundsCheckILm3ElEESD_Lm3ESE_lEENS7_INS8_ISB_SC_Lm2ESE_lEESI_SC_Lm3ESE_lEE,@function
_ZN2at6native12_GLOBAL__N_127upsample_linear1d_out_frameIddEEviT0_bN5torch10headeronly6detail27GenericPackedTensorAccessorINS6_14TensorAccessorIN3c108ArrayRefIlEEKT_Lm2ENS5_16DefaultPtrTraitsElEENS_6detail16IndexBoundsCheckILm3ElEESD_Lm3ESE_lEENS7_INS8_ISB_SC_Lm2ESE_lEESI_SC_Lm3ESE_lEE: ; @_ZN2at6native12_GLOBAL__N_127upsample_linear1d_out_frameIddEEviT0_bN5torch10headeronly6detail27GenericPackedTensorAccessorINS6_14TensorAccessorIN3c108ArrayRefIlEEKT_Lm2ENS5_16DefaultPtrTraitsElEENS_6detail16IndexBoundsCheckILm3ElEESD_Lm3ESE_lEENS7_INS8_ISB_SC_Lm2ESE_lEESI_SC_Lm3ESE_lEE
; %bb.0:
	s_clause 0x1
	s_load_b32 s2, s[0:1], 0x94
	s_load_b32 s3, s[0:1], 0x0
	s_bfe_u32 s4, ttmp6, 0x4000c
	s_and_b32 s5, ttmp6, 15
	s_add_co_i32 s4, s4, 1
	s_getreg_b32 s6, hwreg(HW_REG_IB_STS2, 6, 4)
	s_mul_i32 s4, ttmp9, s4
	s_delay_alu instid0(SALU_CYCLE_1) | instskip(SKIP_4) | instid1(SALU_CYCLE_1)
	s_add_co_i32 s5, s5, s4
	s_wait_kmcnt 0x0
	s_and_b32 s2, s2, 0xffff
	s_cmp_eq_u32 s6, 0
	s_cselect_b32 s4, ttmp9, s5
	v_mad_u32 v0, s4, s2, v0
	s_mov_b32 s2, exec_lo
	s_delay_alu instid0(VALU_DEP_1)
	v_cmpx_gt_i32_e64 s3, v0
	s_cbranch_execz .LBB0_19
; %bb.1:
	s_load_b32 s3, s[0:1], 0x68
	s_wait_kmcnt 0x0
	s_abs_i32 s8, s3
	s_delay_alu instid0(SALU_CYCLE_1) | instskip(SKIP_1) | instid1(SALU_CYCLE_2)
	s_cvt_f32_u32 s2, s8
	s_sub_co_i32 s4, 0, s8
	v_rcp_iflag_f32_e32 v1, s2
	v_nop
	s_delay_alu instid0(TRANS32_DEP_1) | instskip(SKIP_2) | instid1(VALU_DEP_1)
	v_readfirstlane_b32 s2, v1
	v_sub_nc_u32_e32 v1, 0, v0
	s_mul_f32 s2, s2, 0x4f7ffffe
	v_dual_ashrrev_i32 v0, 31, v0 :: v_dual_max_i32 v1, v0, v1
	s_delay_alu instid0(SALU_CYCLE_2) | instskip(NEXT) | instid1(SALU_CYCLE_3)
	s_cvt_u32_f32 s2, s2
	s_mul_i32 s4, s4, s2
	s_delay_alu instid0(SALU_CYCLE_1) | instskip(NEXT) | instid1(SALU_CYCLE_1)
	s_mul_hi_u32 s4, s2, s4
	s_add_co_i32 s2, s2, s4
	s_delay_alu instid0(SALU_CYCLE_1) | instskip(SKIP_3) | instid1(VALU_DEP_1)
	v_mul_hi_u32 v2, v1, s2
	s_clause 0x1
	s_load_b32 s2, s[0:1], 0x30
	s_load_b128 s[4:7], s[0:1], 0x20
	v_mul_lo_u32 v2, v2, s8
	s_wait_kmcnt 0x0
	s_cmp_lg_u32 s2, s3
	s_mov_b32 s3, -1
	s_delay_alu instid0(VALU_DEP_1) | instskip(NEXT) | instid1(VALU_DEP_1)
	v_sub_nc_u32_e32 v1, v1, v2
	v_subrev_nc_u32_e32 v2, s8, v1
	v_cmp_le_u32_e32 vcc_lo, s8, v1
	s_delay_alu instid0(VALU_DEP_2) | instskip(NEXT) | instid1(VALU_DEP_1)
	v_cndmask_b32_e32 v1, v1, v2, vcc_lo
	v_subrev_nc_u32_e32 v2, s8, v1
	v_cmp_le_u32_e32 vcc_lo, s8, v1
	s_delay_alu instid0(VALU_DEP_2) | instskip(NEXT) | instid1(VALU_DEP_1)
	v_cndmask_b32_e32 v1, v1, v2, vcc_lo
	v_xor_b32_e32 v1, v1, v0
	s_delay_alu instid0(VALU_DEP_1)
	v_sub_nc_u32_e32 v0, v1, v0
	s_cbranch_scc0 .LBB0_13
; %bb.2:
	s_delay_alu instid0(VALU_DEP_1)
	v_cvt_f64_i32_e32 v[2:3], v0
	s_load_b96 s[8:10], s[0:1], 0x8
	s_mov_b32 s3, 0
	s_wait_kmcnt 0x0
	s_bitcmp0_b32 s10, 0
	s_cbranch_scc0 .LBB0_4
; %bb.3:
	s_delay_alu instid0(VALU_DEP_1) | instskip(NEXT) | instid1(VALU_DEP_1)
	v_add_f64_e32 v[4:5], 0.5, v[2:3]
	v_fma_f64 v[4:5], s[8:9], v[4:5], -0.5
	s_delay_alu instid0(VALU_DEP_1)
	v_cmp_ngt_f64_e32 vcc_lo, 0, v[4:5]
	v_dual_cndmask_b32 v5, 0, v5 :: v_dual_cndmask_b32 v4, 0, v4
	s_and_not1_b32 vcc_lo, exec_lo, s3
	s_cbranch_vccz .LBB0_5
	s_branch .LBB0_6
.LBB0_4:
                                        ; implicit-def: $vgpr4_vgpr5
.LBB0_5:
	s_delay_alu instid0(VALU_DEP_1)
	v_mul_f64_e32 v[4:5], s[8:9], v[2:3]
.LBB0_6:
	s_cmp_lt_i32 s4, 1
	s_cbranch_scc1 .LBB0_12
; %bb.7:
	s_delay_alu instid0(VALU_DEP_1)
	v_cvt_i32_f64_e32 v6, v[4:5]
	s_clause 0x1
	s_load_b64 s[20:21], s[0:1], 0x80
	s_load_b256 s[12:19], s[0:1], 0x38
	s_add_co_i32 s2, s2, -1
	s_load_b128 s[8:11], s[0:1], 0x70
	s_cmp_gt_i32 s6, 0
	s_mov_b32 s5, 0
	s_cselect_b32 s7, -1, 0
	v_ashrrev_i32_e32 v1, 31, v0
	s_wait_kmcnt 0x0
	s_delay_alu instid0(VALU_DEP_1) | instskip(NEXT) | instid1(VALU_DEP_3)
	v_mul_u64_e32 v[8:9], s[20:21], v[0:1]
	v_cvt_f64_i32_e32 v[2:3], v6
	v_cmp_gt_i32_e32 vcc_lo, s2, v6
	s_delay_alu instid0(VALU_DEP_2) | instskip(SKIP_1) | instid1(VALU_DEP_1)
	v_add_f64_e64 v[2:3], v[4:5], -v[2:3]
	v_add_co_ci_u32_e64 v4, null, 0, v6, vcc_lo
	v_dual_ashrrev_i32 v7, 31, v6 :: v_dual_ashrrev_i32 v5, 31, v4
	s_delay_alu instid0(VALU_DEP_1) | instskip(SKIP_1) | instid1(VALU_DEP_3)
	v_mul_u64_e32 v[10:11], s[16:17], v[6:7]
	v_lshl_add_u64 v[6:7], v[8:9], 3, s[18:19]
	v_mul_u64_e32 v[12:13], s[16:17], v[4:5]
	s_load_b64 s[16:17], s[0:1], 0x18
	s_lshl_b64 s[2:3], s[8:9], 3
	s_lshl_b64 s[8:9], s[10:11], 3
	;; [unrolled: 1-line block ×4, first 2 shown]
	v_add_f64_e64 v[4:5], -v[2:3], 1.0
	s_wait_kmcnt 0x0
	s_delay_alu instid0(VALU_DEP_4) | instskip(NEXT) | instid1(VALU_DEP_3)
	v_lshl_add_u64 v[8:9], v[10:11], 3, s[16:17]
	v_lshl_add_u64 v[10:11], v[12:13], 3, s[16:17]
	s_branch .LBB0_9
.LBB0_8:                                ;   in Loop: Header=BB0_9 Depth=1
	v_add_nc_u64_e32 v[6:7], s[2:3], v[6:7]
	v_add_nc_u64_e32 v[8:9], s[10:11], v[8:9]
	;; [unrolled: 1-line block ×3, first 2 shown]
	s_add_co_i32 s5, s5, 1
	s_delay_alu instid0(SALU_CYCLE_1)
	s_cmp_eq_u32 s5, s4
	s_cbranch_scc1 .LBB0_12
.LBB0_9:                                ; =>This Loop Header: Depth=1
                                        ;     Child Loop BB0_11 Depth 2
	s_and_not1_b32 vcc_lo, exec_lo, s7
	s_cbranch_vccnz .LBB0_8
; %bb.10:                               ;   in Loop: Header=BB0_9 Depth=1
	v_mov_b64_e32 v[12:13], v[6:7]
	s_mov_b64 s[14:15], 0
	s_mov_b32 s16, s6
.LBB0_11:                               ;   Parent Loop BB0_9 Depth=1
                                        ; =>  This Inner Loop Header: Depth=2
	v_add_nc_u64_e32 v[14:15], s[14:15], v[10:11]
	v_add_nc_u64_e32 v[16:17], s[14:15], v[8:9]
	s_add_co_i32 s16, s16, -1
	s_add_nc_u64 s[14:15], s[14:15], s[12:13]
	s_cmp_eq_u32 s16, 0
	global_load_b64 v[14:15], v[14:15], off
	global_load_b64 v[16:17], v[16:17], off
	s_wait_loadcnt 0x1
	s_wait_xcnt 0x1
	v_mul_f64_e32 v[14:15], v[2:3], v[14:15]
	s_wait_loadcnt 0x0
	s_delay_alu instid0(VALU_DEP_1)
	v_fmac_f64_e32 v[14:15], v[4:5], v[16:17]
	global_store_b64 v[12:13], v[14:15], off
	s_wait_xcnt 0x0
	v_add_nc_u64_e32 v[12:13], s[8:9], v[12:13]
	s_cbranch_scc0 .LBB0_11
	s_branch .LBB0_8
.LBB0_12:
	s_mov_b32 s3, 0
.LBB0_13:
	s_delay_alu instid0(SALU_CYCLE_1)
	s_and_b32 vcc_lo, exec_lo, s3
	s_cbranch_vccz .LBB0_19
; %bb.14:
	s_cmp_lt_i32 s4, 1
	s_cbranch_scc1 .LBB0_19
; %bb.15:
	s_clause 0x1
	s_load_b256 s[8:15], s[0:1], 0x38
	s_load_b64 s[2:3], s[0:1], 0x80
	v_ashrrev_i32_e32 v1, 31, v0
	s_load_b128 s[16:19], s[0:1], 0x70
	s_cmp_gt_i32 s6, 0
	s_mov_b32 s5, 0
	s_cselect_b32 s7, -1, 0
	s_wait_kmcnt 0x0
	v_mul_u64_e32 v[2:3], s[12:13], v[0:1]
	v_mul_u64_e32 v[4:5], s[2:3], v[0:1]
	s_load_b64 s[2:3], s[0:1], 0x18
	s_wait_xcnt 0x0
	s_lshl_b64 s[0:1], s[16:17], 3
	s_lshl_b64 s[8:9], s[8:9], 3
	;; [unrolled: 1-line block ×3, first 2 shown]
	s_wait_kmcnt 0x0
	s_delay_alu instid0(VALU_DEP_2) | instskip(NEXT) | instid1(VALU_DEP_2)
	v_lshl_add_u64 v[0:1], v[2:3], 3, s[2:3]
	v_lshl_add_u64 v[2:3], v[4:5], 3, s[14:15]
	s_lshl_b64 s[2:3], s[18:19], 3
	s_branch .LBB0_17
.LBB0_16:                               ;   in Loop: Header=BB0_17 Depth=1
	v_add_nc_u64_e32 v[2:3], s[0:1], v[2:3]
	v_add_nc_u64_e32 v[0:1], s[8:9], v[0:1]
	s_add_co_i32 s5, s5, 1
	s_delay_alu instid0(SALU_CYCLE_1)
	s_cmp_eq_u32 s5, s4
	s_cbranch_scc1 .LBB0_19
.LBB0_17:                               ; =>This Loop Header: Depth=1
                                        ;     Child Loop BB0_18 Depth 2
	s_delay_alu instid0(VALU_DEP_1) | instskip(NEXT) | instid1(VALU_DEP_2)
	v_mov_b64_e32 v[4:5], v[0:1]
	v_mov_b64_e32 v[6:7], v[2:3]
	s_and_not1_b32 vcc_lo, exec_lo, s7
	s_mov_b32 s12, s6
	s_cbranch_vccnz .LBB0_16
.LBB0_18:                               ;   Parent Loop BB0_17 Depth=1
                                        ; =>  This Inner Loop Header: Depth=2
	global_load_b64 v[8:9], v[4:5], off
	s_wait_xcnt 0x0
	v_add_nc_u64_e32 v[4:5], s[10:11], v[4:5]
	s_add_co_i32 s12, s12, -1
	s_delay_alu instid0(SALU_CYCLE_1)
	s_cmp_eq_u32 s12, 0
	s_wait_loadcnt 0x0
	global_store_b64 v[6:7], v[8:9], off
	s_wait_xcnt 0x0
	v_add_nc_u64_e32 v[6:7], s[2:3], v[6:7]
	s_cbranch_scc0 .LBB0_18
	s_branch .LBB0_16
.LBB0_19:
	s_endpgm
	.section	.rodata,"a",@progbits
	.p2align	6, 0x0
	.amdhsa_kernel _ZN2at6native12_GLOBAL__N_127upsample_linear1d_out_frameIddEEviT0_bN5torch10headeronly6detail27GenericPackedTensorAccessorINS6_14TensorAccessorIN3c108ArrayRefIlEEKT_Lm2ENS5_16DefaultPtrTraitsElEENS_6detail16IndexBoundsCheckILm3ElEESD_Lm3ESE_lEENS7_INS8_ISB_SC_Lm2ESE_lEESI_SC_Lm3ESE_lEE
		.amdhsa_group_segment_fixed_size 0
		.amdhsa_private_segment_fixed_size 0
		.amdhsa_kernarg_size 392
		.amdhsa_user_sgpr_count 2
		.amdhsa_user_sgpr_dispatch_ptr 0
		.amdhsa_user_sgpr_queue_ptr 0
		.amdhsa_user_sgpr_kernarg_segment_ptr 1
		.amdhsa_user_sgpr_dispatch_id 0
		.amdhsa_user_sgpr_kernarg_preload_length 0
		.amdhsa_user_sgpr_kernarg_preload_offset 0
		.amdhsa_user_sgpr_private_segment_size 0
		.amdhsa_wavefront_size32 1
		.amdhsa_uses_dynamic_stack 0
		.amdhsa_enable_private_segment 0
		.amdhsa_system_sgpr_workgroup_id_x 1
		.amdhsa_system_sgpr_workgroup_id_y 0
		.amdhsa_system_sgpr_workgroup_id_z 0
		.amdhsa_system_sgpr_workgroup_info 0
		.amdhsa_system_vgpr_workitem_id 0
		.amdhsa_next_free_vgpr 18
		.amdhsa_next_free_sgpr 22
		.amdhsa_named_barrier_count 0
		.amdhsa_reserve_vcc 1
		.amdhsa_float_round_mode_32 0
		.amdhsa_float_round_mode_16_64 0
		.amdhsa_float_denorm_mode_32 3
		.amdhsa_float_denorm_mode_16_64 3
		.amdhsa_fp16_overflow 0
		.amdhsa_memory_ordered 1
		.amdhsa_forward_progress 1
		.amdhsa_inst_pref_size 8
		.amdhsa_round_robin_scheduling 0
		.amdhsa_exception_fp_ieee_invalid_op 0
		.amdhsa_exception_fp_denorm_src 0
		.amdhsa_exception_fp_ieee_div_zero 0
		.amdhsa_exception_fp_ieee_overflow 0
		.amdhsa_exception_fp_ieee_underflow 0
		.amdhsa_exception_fp_ieee_inexact 0
		.amdhsa_exception_int_div_zero 0
	.end_amdhsa_kernel
	.section	.text._ZN2at6native12_GLOBAL__N_127upsample_linear1d_out_frameIddEEviT0_bN5torch10headeronly6detail27GenericPackedTensorAccessorINS6_14TensorAccessorIN3c108ArrayRefIlEEKT_Lm2ENS5_16DefaultPtrTraitsElEENS_6detail16IndexBoundsCheckILm3ElEESD_Lm3ESE_lEENS7_INS8_ISB_SC_Lm2ESE_lEESI_SC_Lm3ESE_lEE,"axG",@progbits,_ZN2at6native12_GLOBAL__N_127upsample_linear1d_out_frameIddEEviT0_bN5torch10headeronly6detail27GenericPackedTensorAccessorINS6_14TensorAccessorIN3c108ArrayRefIlEEKT_Lm2ENS5_16DefaultPtrTraitsElEENS_6detail16IndexBoundsCheckILm3ElEESD_Lm3ESE_lEENS7_INS8_ISB_SC_Lm2ESE_lEESI_SC_Lm3ESE_lEE,comdat
.Lfunc_end0:
	.size	_ZN2at6native12_GLOBAL__N_127upsample_linear1d_out_frameIddEEviT0_bN5torch10headeronly6detail27GenericPackedTensorAccessorINS6_14TensorAccessorIN3c108ArrayRefIlEEKT_Lm2ENS5_16DefaultPtrTraitsElEENS_6detail16IndexBoundsCheckILm3ElEESD_Lm3ESE_lEENS7_INS8_ISB_SC_Lm2ESE_lEESI_SC_Lm3ESE_lEE, .Lfunc_end0-_ZN2at6native12_GLOBAL__N_127upsample_linear1d_out_frameIddEEviT0_bN5torch10headeronly6detail27GenericPackedTensorAccessorINS6_14TensorAccessorIN3c108ArrayRefIlEEKT_Lm2ENS5_16DefaultPtrTraitsElEENS_6detail16IndexBoundsCheckILm3ElEESD_Lm3ESE_lEENS7_INS8_ISB_SC_Lm2ESE_lEESI_SC_Lm3ESE_lEE
                                        ; -- End function
	.set _ZN2at6native12_GLOBAL__N_127upsample_linear1d_out_frameIddEEviT0_bN5torch10headeronly6detail27GenericPackedTensorAccessorINS6_14TensorAccessorIN3c108ArrayRefIlEEKT_Lm2ENS5_16DefaultPtrTraitsElEENS_6detail16IndexBoundsCheckILm3ElEESD_Lm3ESE_lEENS7_INS8_ISB_SC_Lm2ESE_lEESI_SC_Lm3ESE_lEE.num_vgpr, 18
	.set _ZN2at6native12_GLOBAL__N_127upsample_linear1d_out_frameIddEEviT0_bN5torch10headeronly6detail27GenericPackedTensorAccessorINS6_14TensorAccessorIN3c108ArrayRefIlEEKT_Lm2ENS5_16DefaultPtrTraitsElEENS_6detail16IndexBoundsCheckILm3ElEESD_Lm3ESE_lEENS7_INS8_ISB_SC_Lm2ESE_lEESI_SC_Lm3ESE_lEE.num_agpr, 0
	.set _ZN2at6native12_GLOBAL__N_127upsample_linear1d_out_frameIddEEviT0_bN5torch10headeronly6detail27GenericPackedTensorAccessorINS6_14TensorAccessorIN3c108ArrayRefIlEEKT_Lm2ENS5_16DefaultPtrTraitsElEENS_6detail16IndexBoundsCheckILm3ElEESD_Lm3ESE_lEENS7_INS8_ISB_SC_Lm2ESE_lEESI_SC_Lm3ESE_lEE.numbered_sgpr, 22
	.set _ZN2at6native12_GLOBAL__N_127upsample_linear1d_out_frameIddEEviT0_bN5torch10headeronly6detail27GenericPackedTensorAccessorINS6_14TensorAccessorIN3c108ArrayRefIlEEKT_Lm2ENS5_16DefaultPtrTraitsElEENS_6detail16IndexBoundsCheckILm3ElEESD_Lm3ESE_lEENS7_INS8_ISB_SC_Lm2ESE_lEESI_SC_Lm3ESE_lEE.num_named_barrier, 0
	.set _ZN2at6native12_GLOBAL__N_127upsample_linear1d_out_frameIddEEviT0_bN5torch10headeronly6detail27GenericPackedTensorAccessorINS6_14TensorAccessorIN3c108ArrayRefIlEEKT_Lm2ENS5_16DefaultPtrTraitsElEENS_6detail16IndexBoundsCheckILm3ElEESD_Lm3ESE_lEENS7_INS8_ISB_SC_Lm2ESE_lEESI_SC_Lm3ESE_lEE.private_seg_size, 0
	.set _ZN2at6native12_GLOBAL__N_127upsample_linear1d_out_frameIddEEviT0_bN5torch10headeronly6detail27GenericPackedTensorAccessorINS6_14TensorAccessorIN3c108ArrayRefIlEEKT_Lm2ENS5_16DefaultPtrTraitsElEENS_6detail16IndexBoundsCheckILm3ElEESD_Lm3ESE_lEENS7_INS8_ISB_SC_Lm2ESE_lEESI_SC_Lm3ESE_lEE.uses_vcc, 1
	.set _ZN2at6native12_GLOBAL__N_127upsample_linear1d_out_frameIddEEviT0_bN5torch10headeronly6detail27GenericPackedTensorAccessorINS6_14TensorAccessorIN3c108ArrayRefIlEEKT_Lm2ENS5_16DefaultPtrTraitsElEENS_6detail16IndexBoundsCheckILm3ElEESD_Lm3ESE_lEENS7_INS8_ISB_SC_Lm2ESE_lEESI_SC_Lm3ESE_lEE.uses_flat_scratch, 0
	.set _ZN2at6native12_GLOBAL__N_127upsample_linear1d_out_frameIddEEviT0_bN5torch10headeronly6detail27GenericPackedTensorAccessorINS6_14TensorAccessorIN3c108ArrayRefIlEEKT_Lm2ENS5_16DefaultPtrTraitsElEENS_6detail16IndexBoundsCheckILm3ElEESD_Lm3ESE_lEENS7_INS8_ISB_SC_Lm2ESE_lEESI_SC_Lm3ESE_lEE.has_dyn_sized_stack, 0
	.set _ZN2at6native12_GLOBAL__N_127upsample_linear1d_out_frameIddEEviT0_bN5torch10headeronly6detail27GenericPackedTensorAccessorINS6_14TensorAccessorIN3c108ArrayRefIlEEKT_Lm2ENS5_16DefaultPtrTraitsElEENS_6detail16IndexBoundsCheckILm3ElEESD_Lm3ESE_lEENS7_INS8_ISB_SC_Lm2ESE_lEESI_SC_Lm3ESE_lEE.has_recursion, 0
	.set _ZN2at6native12_GLOBAL__N_127upsample_linear1d_out_frameIddEEviT0_bN5torch10headeronly6detail27GenericPackedTensorAccessorINS6_14TensorAccessorIN3c108ArrayRefIlEEKT_Lm2ENS5_16DefaultPtrTraitsElEENS_6detail16IndexBoundsCheckILm3ElEESD_Lm3ESE_lEENS7_INS8_ISB_SC_Lm2ESE_lEESI_SC_Lm3ESE_lEE.has_indirect_call, 0
	.section	.AMDGPU.csdata,"",@progbits
; Kernel info:
; codeLenInByte = 976
; TotalNumSgprs: 24
; NumVgprs: 18
; ScratchSize: 0
; MemoryBound: 0
; FloatMode: 240
; IeeeMode: 1
; LDSByteSize: 0 bytes/workgroup (compile time only)
; SGPRBlocks: 0
; VGPRBlocks: 1
; NumSGPRsForWavesPerEU: 24
; NumVGPRsForWavesPerEU: 18
; NamedBarCnt: 0
; Occupancy: 16
; WaveLimiterHint : 1
; COMPUTE_PGM_RSRC2:SCRATCH_EN: 0
; COMPUTE_PGM_RSRC2:USER_SGPR: 2
; COMPUTE_PGM_RSRC2:TRAP_HANDLER: 0
; COMPUTE_PGM_RSRC2:TGID_X_EN: 1
; COMPUTE_PGM_RSRC2:TGID_Y_EN: 0
; COMPUTE_PGM_RSRC2:TGID_Z_EN: 0
; COMPUTE_PGM_RSRC2:TIDIG_COMP_CNT: 0
	.section	.text._ZN2at6native12_GLOBAL__N_127upsample_linear1d_out_frameIffEEviT0_bN5torch10headeronly6detail27GenericPackedTensorAccessorINS6_14TensorAccessorIN3c108ArrayRefIlEEKT_Lm2ENS5_16DefaultPtrTraitsElEENS_6detail16IndexBoundsCheckILm3ElEESD_Lm3ESE_lEENS7_INS8_ISB_SC_Lm2ESE_lEESI_SC_Lm3ESE_lEE,"axG",@progbits,_ZN2at6native12_GLOBAL__N_127upsample_linear1d_out_frameIffEEviT0_bN5torch10headeronly6detail27GenericPackedTensorAccessorINS6_14TensorAccessorIN3c108ArrayRefIlEEKT_Lm2ENS5_16DefaultPtrTraitsElEENS_6detail16IndexBoundsCheckILm3ElEESD_Lm3ESE_lEENS7_INS8_ISB_SC_Lm2ESE_lEESI_SC_Lm3ESE_lEE,comdat
	.globl	_ZN2at6native12_GLOBAL__N_127upsample_linear1d_out_frameIffEEviT0_bN5torch10headeronly6detail27GenericPackedTensorAccessorINS6_14TensorAccessorIN3c108ArrayRefIlEEKT_Lm2ENS5_16DefaultPtrTraitsElEENS_6detail16IndexBoundsCheckILm3ElEESD_Lm3ESE_lEENS7_INS8_ISB_SC_Lm2ESE_lEESI_SC_Lm3ESE_lEE ; -- Begin function _ZN2at6native12_GLOBAL__N_127upsample_linear1d_out_frameIffEEviT0_bN5torch10headeronly6detail27GenericPackedTensorAccessorINS6_14TensorAccessorIN3c108ArrayRefIlEEKT_Lm2ENS5_16DefaultPtrTraitsElEENS_6detail16IndexBoundsCheckILm3ElEESD_Lm3ESE_lEENS7_INS8_ISB_SC_Lm2ESE_lEESI_SC_Lm3ESE_lEE
	.p2align	8
	.type	_ZN2at6native12_GLOBAL__N_127upsample_linear1d_out_frameIffEEviT0_bN5torch10headeronly6detail27GenericPackedTensorAccessorINS6_14TensorAccessorIN3c108ArrayRefIlEEKT_Lm2ENS5_16DefaultPtrTraitsElEENS_6detail16IndexBoundsCheckILm3ElEESD_Lm3ESE_lEENS7_INS8_ISB_SC_Lm2ESE_lEESI_SC_Lm3ESE_lEE,@function
_ZN2at6native12_GLOBAL__N_127upsample_linear1d_out_frameIffEEviT0_bN5torch10headeronly6detail27GenericPackedTensorAccessorINS6_14TensorAccessorIN3c108ArrayRefIlEEKT_Lm2ENS5_16DefaultPtrTraitsElEENS_6detail16IndexBoundsCheckILm3ElEESD_Lm3ESE_lEENS7_INS8_ISB_SC_Lm2ESE_lEESI_SC_Lm3ESE_lEE: ; @_ZN2at6native12_GLOBAL__N_127upsample_linear1d_out_frameIffEEviT0_bN5torch10headeronly6detail27GenericPackedTensorAccessorINS6_14TensorAccessorIN3c108ArrayRefIlEEKT_Lm2ENS5_16DefaultPtrTraitsElEENS_6detail16IndexBoundsCheckILm3ElEESD_Lm3ESE_lEENS7_INS8_ISB_SC_Lm2ESE_lEESI_SC_Lm3ESE_lEE
; %bb.0:
	s_clause 0x1
	s_load_b32 s2, s[0:1], 0x8c
	s_load_b96 s[8:10], s[0:1], 0x0
	s_bfe_u32 s3, ttmp6, 0x4000c
	s_and_b32 s4, ttmp6, 15
	s_add_co_i32 s3, s3, 1
	s_getreg_b32 s5, hwreg(HW_REG_IB_STS2, 6, 4)
	s_mul_i32 s3, ttmp9, s3
	s_delay_alu instid0(SALU_CYCLE_1) | instskip(SKIP_4) | instid1(SALU_CYCLE_1)
	s_add_co_i32 s4, s4, s3
	s_wait_kmcnt 0x0
	s_and_b32 s2, s2, 0xffff
	s_cmp_eq_u32 s5, 0
	s_cselect_b32 s3, ttmp9, s4
	v_mad_u32 v0, s3, s2, v0
	s_mov_b32 s2, exec_lo
	s_delay_alu instid0(VALU_DEP_1)
	v_cmpx_gt_i32_e64 s8, v0
	s_cbranch_execz .LBB1_19
; %bb.1:
	s_load_b32 s3, s[0:1], 0x60
	s_wait_kmcnt 0x0
	s_abs_i32 s8, s3
	s_delay_alu instid0(SALU_CYCLE_1) | instskip(SKIP_1) | instid1(SALU_CYCLE_2)
	s_cvt_f32_u32 s2, s8
	s_sub_co_i32 s4, 0, s8
	v_rcp_iflag_f32_e32 v1, s2
	v_nop
	s_delay_alu instid0(TRANS32_DEP_1) | instskip(SKIP_2) | instid1(VALU_DEP_1)
	v_readfirstlane_b32 s2, v1
	v_sub_nc_u32_e32 v1, 0, v0
	s_mul_f32 s2, s2, 0x4f7ffffe
	v_dual_ashrrev_i32 v0, 31, v0 :: v_dual_max_i32 v1, v0, v1
	s_delay_alu instid0(SALU_CYCLE_2) | instskip(NEXT) | instid1(SALU_CYCLE_3)
	s_cvt_u32_f32 s2, s2
	s_mul_i32 s4, s4, s2
	s_delay_alu instid0(SALU_CYCLE_1) | instskip(NEXT) | instid1(SALU_CYCLE_1)
	s_mul_hi_u32 s4, s2, s4
	s_add_co_i32 s2, s2, s4
	s_delay_alu instid0(SALU_CYCLE_1) | instskip(SKIP_3) | instid1(VALU_DEP_1)
	v_mul_hi_u32 v2, v1, s2
	s_clause 0x1
	s_load_b32 s2, s[0:1], 0x28
	s_load_b128 s[4:7], s[0:1], 0x18
	v_mul_lo_u32 v2, v2, s8
	s_wait_kmcnt 0x0
	s_cmp_lg_u32 s2, s3
	s_mov_b32 s3, -1
	s_delay_alu instid0(VALU_DEP_1) | instskip(NEXT) | instid1(VALU_DEP_1)
	v_sub_nc_u32_e32 v1, v1, v2
	v_subrev_nc_u32_e32 v2, s8, v1
	v_cmp_le_u32_e32 vcc_lo, s8, v1
	s_delay_alu instid0(VALU_DEP_2) | instskip(NEXT) | instid1(VALU_DEP_1)
	v_cndmask_b32_e32 v1, v1, v2, vcc_lo
	v_subrev_nc_u32_e32 v2, s8, v1
	v_cmp_le_u32_e32 vcc_lo, s8, v1
	s_delay_alu instid0(VALU_DEP_2) | instskip(NEXT) | instid1(VALU_DEP_1)
	v_cndmask_b32_e32 v1, v1, v2, vcc_lo
	v_xor_b32_e32 v1, v1, v0
	s_delay_alu instid0(VALU_DEP_1)
	v_sub_nc_u32_e32 v0, v1, v0
	s_cbranch_scc0 .LBB1_13
; %bb.2:
	s_delay_alu instid0(VALU_DEP_1)
	v_cvt_f32_i32_e32 v1, v0
	s_bitcmp0_b32 s10, 0
	s_mov_b32 s3, 0
	s_cbranch_scc0 .LBB1_4
; %bb.3:
	s_delay_alu instid0(VALU_DEP_1) | instskip(NEXT) | instid1(VALU_DEP_1)
	v_add_f32_e32 v2, 0.5, v1
	v_fma_f32 v2, s9, v2, -0.5
	s_delay_alu instid0(VALU_DEP_1)
	v_cmp_ngt_f32_e32 vcc_lo, 0, v2
	v_cndmask_b32_e32 v2, 0, v2, vcc_lo
	s_and_not1_b32 vcc_lo, exec_lo, s3
	s_cbranch_vccz .LBB1_5
	s_branch .LBB1_6
.LBB1_4:
                                        ; implicit-def: $vgpr2
.LBB1_5:
	s_delay_alu instid0(VALU_DEP_1)
	v_mul_f32_e32 v2, s9, v1
.LBB1_6:
	s_cmp_lt_i32 s4, 1
	s_cbranch_scc1 .LBB1_12
; %bb.7:
	s_clause 0x1
	s_load_b64 s[20:21], s[0:1], 0x78
	s_load_b256 s[12:19], s[0:1], 0x30
	v_cvt_i32_f32_e32 v4, v2
	s_add_co_i32 s2, s2, -1
	s_load_b128 s[8:11], s[0:1], 0x68
	s_cmp_gt_i32 s6, 0
	s_mov_b32 s5, 0
	v_cmp_gt_i32_e32 vcc_lo, s2, v4
	s_cselect_b32 s7, -1, 0
	v_add_co_ci_u32_e64 v6, null, 0, v4, vcc_lo
	s_delay_alu instid0(VALU_DEP_1) | instskip(SKIP_1) | instid1(VALU_DEP_1)
	v_dual_ashrrev_i32 v1, 31, v0 :: v_dual_ashrrev_i32 v7, 31, v6
	s_wait_kmcnt 0x0
	v_mul_u64_e32 v[8:9], s[20:21], v[0:1]
	v_cvt_f32_i32_e32 v1, v4
	v_ashrrev_i32_e32 v5, 31, v4
	v_mul_u64_e32 v[12:13], s[16:17], v[6:7]
	s_delay_alu instid0(VALU_DEP_3) | instskip(NEXT) | instid1(VALU_DEP_3)
	v_sub_f32_e32 v3, v2, v1
	v_mul_u64_e32 v[10:11], s[16:17], v[4:5]
	s_load_b64 s[16:17], s[0:1], 0x10
	s_lshl_b64 s[2:3], s[8:9], 2
	s_lshl_b64 s[8:9], s[10:11], 2
	v_sub_f32_e32 v2, 1.0, v3
	s_lshl_b64 s[10:11], s[12:13], 2
	s_lshl_b64 s[12:13], s[14:15], 2
	v_lshl_add_u64 v[4:5], v[8:9], 2, s[18:19]
	s_wait_kmcnt 0x0
	v_lshl_add_u64 v[8:9], v[12:13], 2, s[16:17]
	s_delay_alu instid0(VALU_DEP_4)
	v_lshl_add_u64 v[6:7], v[10:11], 2, s[16:17]
	s_branch .LBB1_9
.LBB1_8:                                ;   in Loop: Header=BB1_9 Depth=1
	v_add_nc_u64_e32 v[4:5], s[2:3], v[4:5]
	v_add_nc_u64_e32 v[6:7], s[10:11], v[6:7]
	;; [unrolled: 1-line block ×3, first 2 shown]
	s_add_co_i32 s5, s5, 1
	s_delay_alu instid0(SALU_CYCLE_1)
	s_cmp_eq_u32 s5, s4
	s_cbranch_scc1 .LBB1_12
.LBB1_9:                                ; =>This Loop Header: Depth=1
                                        ;     Child Loop BB1_11 Depth 2
	s_and_not1_b32 vcc_lo, exec_lo, s7
	s_cbranch_vccnz .LBB1_8
; %bb.10:                               ;   in Loop: Header=BB1_9 Depth=1
	v_mov_b64_e32 v[10:11], v[4:5]
	s_mov_b64 s[14:15], 0
	s_mov_b32 s16, s6
.LBB1_11:                               ;   Parent Loop BB1_9 Depth=1
                                        ; =>  This Inner Loop Header: Depth=2
	v_add_nc_u64_e32 v[12:13], s[14:15], v[6:7]
	v_add_nc_u64_e32 v[14:15], s[14:15], v[8:9]
	s_add_co_i32 s16, s16, -1
	s_add_nc_u64 s[14:15], s[14:15], s[12:13]
	s_cmp_eq_u32 s16, 0
	global_load_b32 v16, v[12:13], off
	global_load_b32 v17, v[14:15], off
	s_wait_loadcnt 0x0
	s_wait_xcnt 0x1
	v_pk_mul_f32 v[12:13], v[2:3], v[16:17]
	s_delay_alu instid0(VALU_DEP_1)
	v_add_f32_e32 v1, v12, v13
	global_store_b32 v[10:11], v1, off
	s_wait_xcnt 0x0
	v_add_nc_u64_e32 v[10:11], s[8:9], v[10:11]
	s_cbranch_scc0 .LBB1_11
	s_branch .LBB1_8
.LBB1_12:
	s_mov_b32 s3, 0
.LBB1_13:
	s_delay_alu instid0(SALU_CYCLE_1)
	s_and_b32 vcc_lo, exec_lo, s3
	s_cbranch_vccz .LBB1_19
; %bb.14:
	s_cmp_lt_i32 s4, 1
	s_cbranch_scc1 .LBB1_19
; %bb.15:
	s_clause 0x1
	s_load_b256 s[8:15], s[0:1], 0x30
	s_load_b64 s[2:3], s[0:1], 0x78
	v_ashrrev_i32_e32 v1, 31, v0
	s_load_b128 s[16:19], s[0:1], 0x68
	s_cmp_gt_i32 s6, 0
	s_mov_b32 s5, 0
	s_cselect_b32 s7, -1, 0
	s_wait_kmcnt 0x0
	v_mul_u64_e32 v[2:3], s[12:13], v[0:1]
	v_mul_u64_e32 v[4:5], s[2:3], v[0:1]
	s_load_b64 s[2:3], s[0:1], 0x10
	s_wait_xcnt 0x0
	s_lshl_b64 s[0:1], s[16:17], 2
	s_lshl_b64 s[8:9], s[8:9], 2
	;; [unrolled: 1-line block ×3, first 2 shown]
	s_wait_kmcnt 0x0
	s_delay_alu instid0(VALU_DEP_2) | instskip(NEXT) | instid1(VALU_DEP_2)
	v_lshl_add_u64 v[0:1], v[2:3], 2, s[2:3]
	v_lshl_add_u64 v[2:3], v[4:5], 2, s[14:15]
	s_lshl_b64 s[2:3], s[18:19], 2
	s_branch .LBB1_17
.LBB1_16:                               ;   in Loop: Header=BB1_17 Depth=1
	v_add_nc_u64_e32 v[2:3], s[0:1], v[2:3]
	v_add_nc_u64_e32 v[0:1], s[8:9], v[0:1]
	s_add_co_i32 s5, s5, 1
	s_delay_alu instid0(SALU_CYCLE_1)
	s_cmp_eq_u32 s5, s4
	s_cbranch_scc1 .LBB1_19
.LBB1_17:                               ; =>This Loop Header: Depth=1
                                        ;     Child Loop BB1_18 Depth 2
	s_delay_alu instid0(VALU_DEP_1) | instskip(NEXT) | instid1(VALU_DEP_2)
	v_mov_b64_e32 v[4:5], v[0:1]
	v_mov_b64_e32 v[6:7], v[2:3]
	s_and_not1_b32 vcc_lo, exec_lo, s7
	s_mov_b32 s12, s6
	s_cbranch_vccnz .LBB1_16
.LBB1_18:                               ;   Parent Loop BB1_17 Depth=1
                                        ; =>  This Inner Loop Header: Depth=2
	global_load_b32 v8, v[4:5], off
	s_wait_xcnt 0x0
	v_add_nc_u64_e32 v[4:5], s[10:11], v[4:5]
	s_add_co_i32 s12, s12, -1
	s_delay_alu instid0(SALU_CYCLE_1)
	s_cmp_eq_u32 s12, 0
	s_wait_loadcnt 0x0
	global_store_b32 v[6:7], v8, off
	s_wait_xcnt 0x0
	v_add_nc_u64_e32 v[6:7], s[2:3], v[6:7]
	s_cbranch_scc0 .LBB1_18
	s_branch .LBB1_16
.LBB1_19:
	s_endpgm
	.section	.rodata,"a",@progbits
	.p2align	6, 0x0
	.amdhsa_kernel _ZN2at6native12_GLOBAL__N_127upsample_linear1d_out_frameIffEEviT0_bN5torch10headeronly6detail27GenericPackedTensorAccessorINS6_14TensorAccessorIN3c108ArrayRefIlEEKT_Lm2ENS5_16DefaultPtrTraitsElEENS_6detail16IndexBoundsCheckILm3ElEESD_Lm3ESE_lEENS7_INS8_ISB_SC_Lm2ESE_lEESI_SC_Lm3ESE_lEE
		.amdhsa_group_segment_fixed_size 0
		.amdhsa_private_segment_fixed_size 0
		.amdhsa_kernarg_size 384
		.amdhsa_user_sgpr_count 2
		.amdhsa_user_sgpr_dispatch_ptr 0
		.amdhsa_user_sgpr_queue_ptr 0
		.amdhsa_user_sgpr_kernarg_segment_ptr 1
		.amdhsa_user_sgpr_dispatch_id 0
		.amdhsa_user_sgpr_kernarg_preload_length 0
		.amdhsa_user_sgpr_kernarg_preload_offset 0
		.amdhsa_user_sgpr_private_segment_size 0
		.amdhsa_wavefront_size32 1
		.amdhsa_uses_dynamic_stack 0
		.amdhsa_enable_private_segment 0
		.amdhsa_system_sgpr_workgroup_id_x 1
		.amdhsa_system_sgpr_workgroup_id_y 0
		.amdhsa_system_sgpr_workgroup_id_z 0
		.amdhsa_system_sgpr_workgroup_info 0
		.amdhsa_system_vgpr_workitem_id 0
		.amdhsa_next_free_vgpr 18
		.amdhsa_next_free_sgpr 22
		.amdhsa_named_barrier_count 0
		.amdhsa_reserve_vcc 1
		.amdhsa_float_round_mode_32 0
		.amdhsa_float_round_mode_16_64 0
		.amdhsa_float_denorm_mode_32 3
		.amdhsa_float_denorm_mode_16_64 3
		.amdhsa_fp16_overflow 0
		.amdhsa_memory_ordered 1
		.amdhsa_forward_progress 1
		.amdhsa_inst_pref_size 8
		.amdhsa_round_robin_scheduling 0
		.amdhsa_exception_fp_ieee_invalid_op 0
		.amdhsa_exception_fp_denorm_src 0
		.amdhsa_exception_fp_ieee_div_zero 0
		.amdhsa_exception_fp_ieee_overflow 0
		.amdhsa_exception_fp_ieee_underflow 0
		.amdhsa_exception_fp_ieee_inexact 0
		.amdhsa_exception_int_div_zero 0
	.end_amdhsa_kernel
	.section	.text._ZN2at6native12_GLOBAL__N_127upsample_linear1d_out_frameIffEEviT0_bN5torch10headeronly6detail27GenericPackedTensorAccessorINS6_14TensorAccessorIN3c108ArrayRefIlEEKT_Lm2ENS5_16DefaultPtrTraitsElEENS_6detail16IndexBoundsCheckILm3ElEESD_Lm3ESE_lEENS7_INS8_ISB_SC_Lm2ESE_lEESI_SC_Lm3ESE_lEE,"axG",@progbits,_ZN2at6native12_GLOBAL__N_127upsample_linear1d_out_frameIffEEviT0_bN5torch10headeronly6detail27GenericPackedTensorAccessorINS6_14TensorAccessorIN3c108ArrayRefIlEEKT_Lm2ENS5_16DefaultPtrTraitsElEENS_6detail16IndexBoundsCheckILm3ElEESD_Lm3ESE_lEENS7_INS8_ISB_SC_Lm2ESE_lEESI_SC_Lm3ESE_lEE,comdat
.Lfunc_end1:
	.size	_ZN2at6native12_GLOBAL__N_127upsample_linear1d_out_frameIffEEviT0_bN5torch10headeronly6detail27GenericPackedTensorAccessorINS6_14TensorAccessorIN3c108ArrayRefIlEEKT_Lm2ENS5_16DefaultPtrTraitsElEENS_6detail16IndexBoundsCheckILm3ElEESD_Lm3ESE_lEENS7_INS8_ISB_SC_Lm2ESE_lEESI_SC_Lm3ESE_lEE, .Lfunc_end1-_ZN2at6native12_GLOBAL__N_127upsample_linear1d_out_frameIffEEviT0_bN5torch10headeronly6detail27GenericPackedTensorAccessorINS6_14TensorAccessorIN3c108ArrayRefIlEEKT_Lm2ENS5_16DefaultPtrTraitsElEENS_6detail16IndexBoundsCheckILm3ElEESD_Lm3ESE_lEENS7_INS8_ISB_SC_Lm2ESE_lEESI_SC_Lm3ESE_lEE
                                        ; -- End function
	.set _ZN2at6native12_GLOBAL__N_127upsample_linear1d_out_frameIffEEviT0_bN5torch10headeronly6detail27GenericPackedTensorAccessorINS6_14TensorAccessorIN3c108ArrayRefIlEEKT_Lm2ENS5_16DefaultPtrTraitsElEENS_6detail16IndexBoundsCheckILm3ElEESD_Lm3ESE_lEENS7_INS8_ISB_SC_Lm2ESE_lEESI_SC_Lm3ESE_lEE.num_vgpr, 18
	.set _ZN2at6native12_GLOBAL__N_127upsample_linear1d_out_frameIffEEviT0_bN5torch10headeronly6detail27GenericPackedTensorAccessorINS6_14TensorAccessorIN3c108ArrayRefIlEEKT_Lm2ENS5_16DefaultPtrTraitsElEENS_6detail16IndexBoundsCheckILm3ElEESD_Lm3ESE_lEENS7_INS8_ISB_SC_Lm2ESE_lEESI_SC_Lm3ESE_lEE.num_agpr, 0
	.set _ZN2at6native12_GLOBAL__N_127upsample_linear1d_out_frameIffEEviT0_bN5torch10headeronly6detail27GenericPackedTensorAccessorINS6_14TensorAccessorIN3c108ArrayRefIlEEKT_Lm2ENS5_16DefaultPtrTraitsElEENS_6detail16IndexBoundsCheckILm3ElEESD_Lm3ESE_lEENS7_INS8_ISB_SC_Lm2ESE_lEESI_SC_Lm3ESE_lEE.numbered_sgpr, 22
	.set _ZN2at6native12_GLOBAL__N_127upsample_linear1d_out_frameIffEEviT0_bN5torch10headeronly6detail27GenericPackedTensorAccessorINS6_14TensorAccessorIN3c108ArrayRefIlEEKT_Lm2ENS5_16DefaultPtrTraitsElEENS_6detail16IndexBoundsCheckILm3ElEESD_Lm3ESE_lEENS7_INS8_ISB_SC_Lm2ESE_lEESI_SC_Lm3ESE_lEE.num_named_barrier, 0
	.set _ZN2at6native12_GLOBAL__N_127upsample_linear1d_out_frameIffEEviT0_bN5torch10headeronly6detail27GenericPackedTensorAccessorINS6_14TensorAccessorIN3c108ArrayRefIlEEKT_Lm2ENS5_16DefaultPtrTraitsElEENS_6detail16IndexBoundsCheckILm3ElEESD_Lm3ESE_lEENS7_INS8_ISB_SC_Lm2ESE_lEESI_SC_Lm3ESE_lEE.private_seg_size, 0
	.set _ZN2at6native12_GLOBAL__N_127upsample_linear1d_out_frameIffEEviT0_bN5torch10headeronly6detail27GenericPackedTensorAccessorINS6_14TensorAccessorIN3c108ArrayRefIlEEKT_Lm2ENS5_16DefaultPtrTraitsElEENS_6detail16IndexBoundsCheckILm3ElEESD_Lm3ESE_lEENS7_INS8_ISB_SC_Lm2ESE_lEESI_SC_Lm3ESE_lEE.uses_vcc, 1
	.set _ZN2at6native12_GLOBAL__N_127upsample_linear1d_out_frameIffEEviT0_bN5torch10headeronly6detail27GenericPackedTensorAccessorINS6_14TensorAccessorIN3c108ArrayRefIlEEKT_Lm2ENS5_16DefaultPtrTraitsElEENS_6detail16IndexBoundsCheckILm3ElEESD_Lm3ESE_lEENS7_INS8_ISB_SC_Lm2ESE_lEESI_SC_Lm3ESE_lEE.uses_flat_scratch, 0
	.set _ZN2at6native12_GLOBAL__N_127upsample_linear1d_out_frameIffEEviT0_bN5torch10headeronly6detail27GenericPackedTensorAccessorINS6_14TensorAccessorIN3c108ArrayRefIlEEKT_Lm2ENS5_16DefaultPtrTraitsElEENS_6detail16IndexBoundsCheckILm3ElEESD_Lm3ESE_lEENS7_INS8_ISB_SC_Lm2ESE_lEESI_SC_Lm3ESE_lEE.has_dyn_sized_stack, 0
	.set _ZN2at6native12_GLOBAL__N_127upsample_linear1d_out_frameIffEEviT0_bN5torch10headeronly6detail27GenericPackedTensorAccessorINS6_14TensorAccessorIN3c108ArrayRefIlEEKT_Lm2ENS5_16DefaultPtrTraitsElEENS_6detail16IndexBoundsCheckILm3ElEESD_Lm3ESE_lEENS7_INS8_ISB_SC_Lm2ESE_lEESI_SC_Lm3ESE_lEE.has_recursion, 0
	.set _ZN2at6native12_GLOBAL__N_127upsample_linear1d_out_frameIffEEviT0_bN5torch10headeronly6detail27GenericPackedTensorAccessorINS6_14TensorAccessorIN3c108ArrayRefIlEEKT_Lm2ENS5_16DefaultPtrTraitsElEENS_6detail16IndexBoundsCheckILm3ElEESD_Lm3ESE_lEENS7_INS8_ISB_SC_Lm2ESE_lEESI_SC_Lm3ESE_lEE.has_indirect_call, 0
	.section	.AMDGPU.csdata,"",@progbits
; Kernel info:
; codeLenInByte = 944
; TotalNumSgprs: 24
; NumVgprs: 18
; ScratchSize: 0
; MemoryBound: 0
; FloatMode: 240
; IeeeMode: 1
; LDSByteSize: 0 bytes/workgroup (compile time only)
; SGPRBlocks: 0
; VGPRBlocks: 1
; NumSGPRsForWavesPerEU: 24
; NumVGPRsForWavesPerEU: 18
; NamedBarCnt: 0
; Occupancy: 16
; WaveLimiterHint : 1
; COMPUTE_PGM_RSRC2:SCRATCH_EN: 0
; COMPUTE_PGM_RSRC2:USER_SGPR: 2
; COMPUTE_PGM_RSRC2:TRAP_HANDLER: 0
; COMPUTE_PGM_RSRC2:TGID_X_EN: 1
; COMPUTE_PGM_RSRC2:TGID_Y_EN: 0
; COMPUTE_PGM_RSRC2:TGID_Z_EN: 0
; COMPUTE_PGM_RSRC2:TIDIG_COMP_CNT: 0
	.section	.text._ZN2at6native12_GLOBAL__N_127upsample_linear1d_out_frameIN3c104HalfEfEEviT0_bN5torch10headeronly6detail27GenericPackedTensorAccessorINS8_14TensorAccessorINS3_8ArrayRefIlEEKT_Lm2ENS7_16DefaultPtrTraitsElEENS_6detail16IndexBoundsCheckILm3ElEESE_Lm3ESF_lEENS9_INSA_ISC_SD_Lm2ESF_lEESJ_SD_Lm3ESF_lEE,"axG",@progbits,_ZN2at6native12_GLOBAL__N_127upsample_linear1d_out_frameIN3c104HalfEfEEviT0_bN5torch10headeronly6detail27GenericPackedTensorAccessorINS8_14TensorAccessorINS3_8ArrayRefIlEEKT_Lm2ENS7_16DefaultPtrTraitsElEENS_6detail16IndexBoundsCheckILm3ElEESE_Lm3ESF_lEENS9_INSA_ISC_SD_Lm2ESF_lEESJ_SD_Lm3ESF_lEE,comdat
	.globl	_ZN2at6native12_GLOBAL__N_127upsample_linear1d_out_frameIN3c104HalfEfEEviT0_bN5torch10headeronly6detail27GenericPackedTensorAccessorINS8_14TensorAccessorINS3_8ArrayRefIlEEKT_Lm2ENS7_16DefaultPtrTraitsElEENS_6detail16IndexBoundsCheckILm3ElEESE_Lm3ESF_lEENS9_INSA_ISC_SD_Lm2ESF_lEESJ_SD_Lm3ESF_lEE ; -- Begin function _ZN2at6native12_GLOBAL__N_127upsample_linear1d_out_frameIN3c104HalfEfEEviT0_bN5torch10headeronly6detail27GenericPackedTensorAccessorINS8_14TensorAccessorINS3_8ArrayRefIlEEKT_Lm2ENS7_16DefaultPtrTraitsElEENS_6detail16IndexBoundsCheckILm3ElEESE_Lm3ESF_lEENS9_INSA_ISC_SD_Lm2ESF_lEESJ_SD_Lm3ESF_lEE
	.p2align	8
	.type	_ZN2at6native12_GLOBAL__N_127upsample_linear1d_out_frameIN3c104HalfEfEEviT0_bN5torch10headeronly6detail27GenericPackedTensorAccessorINS8_14TensorAccessorINS3_8ArrayRefIlEEKT_Lm2ENS7_16DefaultPtrTraitsElEENS_6detail16IndexBoundsCheckILm3ElEESE_Lm3ESF_lEENS9_INSA_ISC_SD_Lm2ESF_lEESJ_SD_Lm3ESF_lEE,@function
_ZN2at6native12_GLOBAL__N_127upsample_linear1d_out_frameIN3c104HalfEfEEviT0_bN5torch10headeronly6detail27GenericPackedTensorAccessorINS8_14TensorAccessorINS3_8ArrayRefIlEEKT_Lm2ENS7_16DefaultPtrTraitsElEENS_6detail16IndexBoundsCheckILm3ElEESE_Lm3ESF_lEENS9_INSA_ISC_SD_Lm2ESF_lEESJ_SD_Lm3ESF_lEE: ; @_ZN2at6native12_GLOBAL__N_127upsample_linear1d_out_frameIN3c104HalfEfEEviT0_bN5torch10headeronly6detail27GenericPackedTensorAccessorINS8_14TensorAccessorINS3_8ArrayRefIlEEKT_Lm2ENS7_16DefaultPtrTraitsElEENS_6detail16IndexBoundsCheckILm3ElEESE_Lm3ESF_lEENS9_INSA_ISC_SD_Lm2ESF_lEESJ_SD_Lm3ESF_lEE
; %bb.0:
	s_clause 0x1
	s_load_b32 s2, s[0:1], 0x8c
	s_load_b96 s[8:10], s[0:1], 0x0
	s_bfe_u32 s3, ttmp6, 0x4000c
	s_and_b32 s4, ttmp6, 15
	s_add_co_i32 s3, s3, 1
	s_getreg_b32 s5, hwreg(HW_REG_IB_STS2, 6, 4)
	s_mul_i32 s3, ttmp9, s3
	s_delay_alu instid0(SALU_CYCLE_1) | instskip(SKIP_4) | instid1(SALU_CYCLE_1)
	s_add_co_i32 s4, s4, s3
	s_wait_kmcnt 0x0
	s_and_b32 s2, s2, 0xffff
	s_cmp_eq_u32 s5, 0
	s_cselect_b32 s3, ttmp9, s4
	v_mad_u32 v0, s3, s2, v0
	s_mov_b32 s2, exec_lo
	s_delay_alu instid0(VALU_DEP_1)
	v_cmpx_gt_i32_e64 s8, v0
	s_cbranch_execz .LBB2_19
; %bb.1:
	s_load_b32 s3, s[0:1], 0x60
	s_wait_kmcnt 0x0
	s_abs_i32 s8, s3
	s_delay_alu instid0(SALU_CYCLE_1) | instskip(SKIP_1) | instid1(SALU_CYCLE_2)
	s_cvt_f32_u32 s2, s8
	s_sub_co_i32 s4, 0, s8
	v_rcp_iflag_f32_e32 v1, s2
	v_nop
	s_delay_alu instid0(TRANS32_DEP_1) | instskip(SKIP_2) | instid1(VALU_DEP_1)
	v_readfirstlane_b32 s2, v1
	v_sub_nc_u32_e32 v1, 0, v0
	s_mul_f32 s2, s2, 0x4f7ffffe
	v_dual_ashrrev_i32 v0, 31, v0 :: v_dual_max_i32 v1, v0, v1
	s_delay_alu instid0(SALU_CYCLE_2) | instskip(NEXT) | instid1(SALU_CYCLE_3)
	s_cvt_u32_f32 s2, s2
	s_mul_i32 s4, s4, s2
	s_delay_alu instid0(SALU_CYCLE_1) | instskip(NEXT) | instid1(SALU_CYCLE_1)
	s_mul_hi_u32 s4, s2, s4
	s_add_co_i32 s2, s2, s4
	s_delay_alu instid0(SALU_CYCLE_1) | instskip(SKIP_3) | instid1(VALU_DEP_1)
	v_mul_hi_u32 v2, v1, s2
	s_clause 0x1
	s_load_b32 s2, s[0:1], 0x28
	s_load_b128 s[4:7], s[0:1], 0x18
	v_mul_lo_u32 v2, v2, s8
	s_wait_kmcnt 0x0
	s_cmp_lg_u32 s2, s3
	s_mov_b32 s3, -1
	s_delay_alu instid0(VALU_DEP_1) | instskip(NEXT) | instid1(VALU_DEP_1)
	v_sub_nc_u32_e32 v1, v1, v2
	v_subrev_nc_u32_e32 v2, s8, v1
	v_cmp_le_u32_e32 vcc_lo, s8, v1
	s_delay_alu instid0(VALU_DEP_2) | instskip(NEXT) | instid1(VALU_DEP_1)
	v_cndmask_b32_e32 v1, v1, v2, vcc_lo
	v_subrev_nc_u32_e32 v2, s8, v1
	v_cmp_le_u32_e32 vcc_lo, s8, v1
	s_delay_alu instid0(VALU_DEP_2) | instskip(NEXT) | instid1(VALU_DEP_1)
	v_cndmask_b32_e32 v1, v1, v2, vcc_lo
	v_xor_b32_e32 v1, v1, v0
	s_delay_alu instid0(VALU_DEP_1)
	v_sub_nc_u32_e32 v0, v1, v0
	s_cbranch_scc0 .LBB2_13
; %bb.2:
	s_delay_alu instid0(VALU_DEP_1)
	v_cvt_f32_i32_e32 v1, v0
	s_bitcmp0_b32 s10, 0
	s_mov_b32 s3, 0
	s_cbranch_scc0 .LBB2_4
; %bb.3:
	s_delay_alu instid0(VALU_DEP_1) | instskip(NEXT) | instid1(VALU_DEP_1)
	v_add_f32_e32 v2, 0.5, v1
	v_fma_f32 v2, s9, v2, -0.5
	s_delay_alu instid0(VALU_DEP_1)
	v_cmp_ngt_f32_e32 vcc_lo, 0, v2
	v_cndmask_b32_e32 v2, 0, v2, vcc_lo
	s_and_not1_b32 vcc_lo, exec_lo, s3
	s_cbranch_vccz .LBB2_5
	s_branch .LBB2_6
.LBB2_4:
                                        ; implicit-def: $vgpr2
.LBB2_5:
	s_delay_alu instid0(VALU_DEP_1)
	v_mul_f32_e32 v2, s9, v1
.LBB2_6:
	s_cmp_lt_i32 s4, 1
	s_cbranch_scc1 .LBB2_12
; %bb.7:
	s_clause 0x1
	s_load_b64 s[20:21], s[0:1], 0x78
	s_load_b256 s[12:19], s[0:1], 0x30
	v_cvt_i32_f32_e32 v4, v2
	s_add_co_i32 s2, s2, -1
	s_load_b128 s[8:11], s[0:1], 0x68
	s_cmp_gt_i32 s6, 0
	s_mov_b32 s5, 0
	v_cmp_gt_i32_e32 vcc_lo, s2, v4
	s_cselect_b32 s7, -1, 0
	v_add_co_ci_u32_e64 v6, null, 0, v4, vcc_lo
	s_delay_alu instid0(VALU_DEP_1) | instskip(SKIP_1) | instid1(VALU_DEP_1)
	v_dual_ashrrev_i32 v1, 31, v0 :: v_dual_ashrrev_i32 v7, 31, v6
	s_wait_kmcnt 0x0
	v_mul_u64_e32 v[8:9], s[20:21], v[0:1]
	v_cvt_f32_i32_e32 v1, v4
	v_ashrrev_i32_e32 v5, 31, v4
	v_mul_u64_e32 v[6:7], s[16:17], v[6:7]
	s_delay_alu instid0(VALU_DEP_3) | instskip(NEXT) | instid1(VALU_DEP_3)
	v_sub_f32_e32 v1, v2, v1
	v_mul_u64_e32 v[12:13], s[16:17], v[4:5]
	s_load_b64 s[16:17], s[0:1], 0x10
	s_lshl_b64 s[2:3], s[8:9], 1
	s_lshl_b64 s[8:9], s[10:11], 1
	v_sub_f32_e32 v10, 1.0, v1
	s_lshl_b64 s[10:11], s[12:13], 1
	s_lshl_b64 s[12:13], s[14:15], 1
	v_lshl_add_u64 v[2:3], v[8:9], 1, s[18:19]
	s_wait_kmcnt 0x0
	v_lshl_add_u64 v[6:7], v[6:7], 1, s[16:17]
	s_delay_alu instid0(VALU_DEP_4)
	v_lshl_add_u64 v[4:5], v[12:13], 1, s[16:17]
	s_branch .LBB2_9
.LBB2_8:                                ;   in Loop: Header=BB2_9 Depth=1
	v_add_nc_u64_e32 v[2:3], s[2:3], v[2:3]
	v_add_nc_u64_e32 v[4:5], s[10:11], v[4:5]
	;; [unrolled: 1-line block ×3, first 2 shown]
	s_add_co_i32 s5, s5, 1
	s_delay_alu instid0(SALU_CYCLE_1)
	s_cmp_eq_u32 s5, s4
	s_cbranch_scc1 .LBB2_12
.LBB2_9:                                ; =>This Loop Header: Depth=1
                                        ;     Child Loop BB2_11 Depth 2
	s_and_not1_b32 vcc_lo, exec_lo, s7
	s_cbranch_vccnz .LBB2_8
; %bb.10:                               ;   in Loop: Header=BB2_9 Depth=1
	v_mov_b64_e32 v[8:9], v[2:3]
	s_mov_b64 s[14:15], 0
	s_mov_b32 s16, s6
.LBB2_11:                               ;   Parent Loop BB2_9 Depth=1
                                        ; =>  This Inner Loop Header: Depth=2
	v_add_nc_u64_e32 v[12:13], s[14:15], v[6:7]
	s_add_co_i32 s16, s16, -1
	s_delay_alu instid0(SALU_CYCLE_1)
	s_cmp_eq_u32 s16, 0
	global_load_u16 v11, v[12:13], off
	s_wait_xcnt 0x0
	v_add_nc_u64_e32 v[12:13], s[14:15], v[4:5]
	s_add_nc_u64 s[14:15], s[14:15], s[12:13]
	global_load_u16 v12, v[12:13], off
	s_wait_loadcnt 0x1
	v_cvt_f32_f16_e32 v11, v11
	s_delay_alu instid0(VALU_DEP_1) | instskip(SKIP_1) | instid1(VALU_DEP_1)
	v_mul_f32_e32 v11, v1, v11
	s_wait_loadcnt 0x0
	v_fma_mixlo_f16 v11, v10, v12, v11 op_sel_hi:[0,1,0]
	global_store_b16 v[8:9], v11, off
	s_wait_xcnt 0x0
	v_add_nc_u64_e32 v[8:9], s[8:9], v[8:9]
	s_cbranch_scc0 .LBB2_11
	s_branch .LBB2_8
.LBB2_12:
	s_mov_b32 s3, 0
.LBB2_13:
	s_delay_alu instid0(SALU_CYCLE_1)
	s_and_b32 vcc_lo, exec_lo, s3
	s_cbranch_vccz .LBB2_19
; %bb.14:
	s_cmp_lt_i32 s4, 1
	s_cbranch_scc1 .LBB2_19
; %bb.15:
	s_clause 0x1
	s_load_b256 s[8:15], s[0:1], 0x30
	s_load_b64 s[2:3], s[0:1], 0x78
	v_ashrrev_i32_e32 v1, 31, v0
	s_load_b128 s[16:19], s[0:1], 0x68
	s_cmp_gt_i32 s6, 0
	s_mov_b32 s5, 0
	s_cselect_b32 s7, -1, 0
	s_wait_kmcnt 0x0
	v_mul_u64_e32 v[2:3], s[12:13], v[0:1]
	v_mul_u64_e32 v[4:5], s[2:3], v[0:1]
	s_load_b64 s[2:3], s[0:1], 0x10
	s_wait_xcnt 0x0
	s_lshl_b64 s[0:1], s[16:17], 1
	s_lshl_b64 s[8:9], s[8:9], 1
	;; [unrolled: 1-line block ×3, first 2 shown]
	s_wait_kmcnt 0x0
	s_delay_alu instid0(VALU_DEP_2) | instskip(NEXT) | instid1(VALU_DEP_2)
	v_lshl_add_u64 v[0:1], v[2:3], 1, s[2:3]
	v_lshl_add_u64 v[2:3], v[4:5], 1, s[14:15]
	s_lshl_b64 s[2:3], s[18:19], 1
	s_branch .LBB2_17
.LBB2_16:                               ;   in Loop: Header=BB2_17 Depth=1
	v_add_nc_u64_e32 v[2:3], s[0:1], v[2:3]
	v_add_nc_u64_e32 v[0:1], s[8:9], v[0:1]
	s_add_co_i32 s5, s5, 1
	s_delay_alu instid0(SALU_CYCLE_1)
	s_cmp_eq_u32 s5, s4
	s_cbranch_scc1 .LBB2_19
.LBB2_17:                               ; =>This Loop Header: Depth=1
                                        ;     Child Loop BB2_18 Depth 2
	s_delay_alu instid0(VALU_DEP_1) | instskip(NEXT) | instid1(VALU_DEP_2)
	v_mov_b64_e32 v[4:5], v[0:1]
	v_mov_b64_e32 v[6:7], v[2:3]
	s_and_not1_b32 vcc_lo, exec_lo, s7
	s_mov_b32 s12, s6
	s_cbranch_vccnz .LBB2_16
.LBB2_18:                               ;   Parent Loop BB2_17 Depth=1
                                        ; =>  This Inner Loop Header: Depth=2
	global_load_u16 v8, v[4:5], off
	s_wait_xcnt 0x0
	v_add_nc_u64_e32 v[4:5], s[10:11], v[4:5]
	s_add_co_i32 s12, s12, -1
	s_delay_alu instid0(SALU_CYCLE_1)
	s_cmp_eq_u32 s12, 0
	s_wait_loadcnt 0x0
	global_store_b16 v[6:7], v8, off
	s_wait_xcnt 0x0
	v_add_nc_u64_e32 v[6:7], s[2:3], v[6:7]
	s_cbranch_scc0 .LBB2_18
	s_branch .LBB2_16
.LBB2_19:
	s_endpgm
	.section	.rodata,"a",@progbits
	.p2align	6, 0x0
	.amdhsa_kernel _ZN2at6native12_GLOBAL__N_127upsample_linear1d_out_frameIN3c104HalfEfEEviT0_bN5torch10headeronly6detail27GenericPackedTensorAccessorINS8_14TensorAccessorINS3_8ArrayRefIlEEKT_Lm2ENS7_16DefaultPtrTraitsElEENS_6detail16IndexBoundsCheckILm3ElEESE_Lm3ESF_lEENS9_INSA_ISC_SD_Lm2ESF_lEESJ_SD_Lm3ESF_lEE
		.amdhsa_group_segment_fixed_size 0
		.amdhsa_private_segment_fixed_size 0
		.amdhsa_kernarg_size 384
		.amdhsa_user_sgpr_count 2
		.amdhsa_user_sgpr_dispatch_ptr 0
		.amdhsa_user_sgpr_queue_ptr 0
		.amdhsa_user_sgpr_kernarg_segment_ptr 1
		.amdhsa_user_sgpr_dispatch_id 0
		.amdhsa_user_sgpr_kernarg_preload_length 0
		.amdhsa_user_sgpr_kernarg_preload_offset 0
		.amdhsa_user_sgpr_private_segment_size 0
		.amdhsa_wavefront_size32 1
		.amdhsa_uses_dynamic_stack 0
		.amdhsa_enable_private_segment 0
		.amdhsa_system_sgpr_workgroup_id_x 1
		.amdhsa_system_sgpr_workgroup_id_y 0
		.amdhsa_system_sgpr_workgroup_id_z 0
		.amdhsa_system_sgpr_workgroup_info 0
		.amdhsa_system_vgpr_workitem_id 0
		.amdhsa_next_free_vgpr 14
		.amdhsa_next_free_sgpr 22
		.amdhsa_named_barrier_count 0
		.amdhsa_reserve_vcc 1
		.amdhsa_float_round_mode_32 0
		.amdhsa_float_round_mode_16_64 0
		.amdhsa_float_denorm_mode_32 3
		.amdhsa_float_denorm_mode_16_64 3
		.amdhsa_fp16_overflow 0
		.amdhsa_memory_ordered 1
		.amdhsa_forward_progress 1
		.amdhsa_inst_pref_size 8
		.amdhsa_round_robin_scheduling 0
		.amdhsa_exception_fp_ieee_invalid_op 0
		.amdhsa_exception_fp_denorm_src 0
		.amdhsa_exception_fp_ieee_div_zero 0
		.amdhsa_exception_fp_ieee_overflow 0
		.amdhsa_exception_fp_ieee_underflow 0
		.amdhsa_exception_fp_ieee_inexact 0
		.amdhsa_exception_int_div_zero 0
	.end_amdhsa_kernel
	.section	.text._ZN2at6native12_GLOBAL__N_127upsample_linear1d_out_frameIN3c104HalfEfEEviT0_bN5torch10headeronly6detail27GenericPackedTensorAccessorINS8_14TensorAccessorINS3_8ArrayRefIlEEKT_Lm2ENS7_16DefaultPtrTraitsElEENS_6detail16IndexBoundsCheckILm3ElEESE_Lm3ESF_lEENS9_INSA_ISC_SD_Lm2ESF_lEESJ_SD_Lm3ESF_lEE,"axG",@progbits,_ZN2at6native12_GLOBAL__N_127upsample_linear1d_out_frameIN3c104HalfEfEEviT0_bN5torch10headeronly6detail27GenericPackedTensorAccessorINS8_14TensorAccessorINS3_8ArrayRefIlEEKT_Lm2ENS7_16DefaultPtrTraitsElEENS_6detail16IndexBoundsCheckILm3ElEESE_Lm3ESF_lEENS9_INSA_ISC_SD_Lm2ESF_lEESJ_SD_Lm3ESF_lEE,comdat
.Lfunc_end2:
	.size	_ZN2at6native12_GLOBAL__N_127upsample_linear1d_out_frameIN3c104HalfEfEEviT0_bN5torch10headeronly6detail27GenericPackedTensorAccessorINS8_14TensorAccessorINS3_8ArrayRefIlEEKT_Lm2ENS7_16DefaultPtrTraitsElEENS_6detail16IndexBoundsCheckILm3ElEESE_Lm3ESF_lEENS9_INSA_ISC_SD_Lm2ESF_lEESJ_SD_Lm3ESF_lEE, .Lfunc_end2-_ZN2at6native12_GLOBAL__N_127upsample_linear1d_out_frameIN3c104HalfEfEEviT0_bN5torch10headeronly6detail27GenericPackedTensorAccessorINS8_14TensorAccessorINS3_8ArrayRefIlEEKT_Lm2ENS7_16DefaultPtrTraitsElEENS_6detail16IndexBoundsCheckILm3ElEESE_Lm3ESF_lEENS9_INSA_ISC_SD_Lm2ESF_lEESJ_SD_Lm3ESF_lEE
                                        ; -- End function
	.set _ZN2at6native12_GLOBAL__N_127upsample_linear1d_out_frameIN3c104HalfEfEEviT0_bN5torch10headeronly6detail27GenericPackedTensorAccessorINS8_14TensorAccessorINS3_8ArrayRefIlEEKT_Lm2ENS7_16DefaultPtrTraitsElEENS_6detail16IndexBoundsCheckILm3ElEESE_Lm3ESF_lEENS9_INSA_ISC_SD_Lm2ESF_lEESJ_SD_Lm3ESF_lEE.num_vgpr, 14
	.set _ZN2at6native12_GLOBAL__N_127upsample_linear1d_out_frameIN3c104HalfEfEEviT0_bN5torch10headeronly6detail27GenericPackedTensorAccessorINS8_14TensorAccessorINS3_8ArrayRefIlEEKT_Lm2ENS7_16DefaultPtrTraitsElEENS_6detail16IndexBoundsCheckILm3ElEESE_Lm3ESF_lEENS9_INSA_ISC_SD_Lm2ESF_lEESJ_SD_Lm3ESF_lEE.num_agpr, 0
	.set _ZN2at6native12_GLOBAL__N_127upsample_linear1d_out_frameIN3c104HalfEfEEviT0_bN5torch10headeronly6detail27GenericPackedTensorAccessorINS8_14TensorAccessorINS3_8ArrayRefIlEEKT_Lm2ENS7_16DefaultPtrTraitsElEENS_6detail16IndexBoundsCheckILm3ElEESE_Lm3ESF_lEENS9_INSA_ISC_SD_Lm2ESF_lEESJ_SD_Lm3ESF_lEE.numbered_sgpr, 22
	.set _ZN2at6native12_GLOBAL__N_127upsample_linear1d_out_frameIN3c104HalfEfEEviT0_bN5torch10headeronly6detail27GenericPackedTensorAccessorINS8_14TensorAccessorINS3_8ArrayRefIlEEKT_Lm2ENS7_16DefaultPtrTraitsElEENS_6detail16IndexBoundsCheckILm3ElEESE_Lm3ESF_lEENS9_INSA_ISC_SD_Lm2ESF_lEESJ_SD_Lm3ESF_lEE.num_named_barrier, 0
	.set _ZN2at6native12_GLOBAL__N_127upsample_linear1d_out_frameIN3c104HalfEfEEviT0_bN5torch10headeronly6detail27GenericPackedTensorAccessorINS8_14TensorAccessorINS3_8ArrayRefIlEEKT_Lm2ENS7_16DefaultPtrTraitsElEENS_6detail16IndexBoundsCheckILm3ElEESE_Lm3ESF_lEENS9_INSA_ISC_SD_Lm2ESF_lEESJ_SD_Lm3ESF_lEE.private_seg_size, 0
	.set _ZN2at6native12_GLOBAL__N_127upsample_linear1d_out_frameIN3c104HalfEfEEviT0_bN5torch10headeronly6detail27GenericPackedTensorAccessorINS8_14TensorAccessorINS3_8ArrayRefIlEEKT_Lm2ENS7_16DefaultPtrTraitsElEENS_6detail16IndexBoundsCheckILm3ElEESE_Lm3ESF_lEENS9_INSA_ISC_SD_Lm2ESF_lEESJ_SD_Lm3ESF_lEE.uses_vcc, 1
	.set _ZN2at6native12_GLOBAL__N_127upsample_linear1d_out_frameIN3c104HalfEfEEviT0_bN5torch10headeronly6detail27GenericPackedTensorAccessorINS8_14TensorAccessorINS3_8ArrayRefIlEEKT_Lm2ENS7_16DefaultPtrTraitsElEENS_6detail16IndexBoundsCheckILm3ElEESE_Lm3ESF_lEENS9_INSA_ISC_SD_Lm2ESF_lEESJ_SD_Lm3ESF_lEE.uses_flat_scratch, 0
	.set _ZN2at6native12_GLOBAL__N_127upsample_linear1d_out_frameIN3c104HalfEfEEviT0_bN5torch10headeronly6detail27GenericPackedTensorAccessorINS8_14TensorAccessorINS3_8ArrayRefIlEEKT_Lm2ENS7_16DefaultPtrTraitsElEENS_6detail16IndexBoundsCheckILm3ElEESE_Lm3ESF_lEENS9_INSA_ISC_SD_Lm2ESF_lEESJ_SD_Lm3ESF_lEE.has_dyn_sized_stack, 0
	.set _ZN2at6native12_GLOBAL__N_127upsample_linear1d_out_frameIN3c104HalfEfEEviT0_bN5torch10headeronly6detail27GenericPackedTensorAccessorINS8_14TensorAccessorINS3_8ArrayRefIlEEKT_Lm2ENS7_16DefaultPtrTraitsElEENS_6detail16IndexBoundsCheckILm3ElEESE_Lm3ESF_lEENS9_INSA_ISC_SD_Lm2ESF_lEESJ_SD_Lm3ESF_lEE.has_recursion, 0
	.set _ZN2at6native12_GLOBAL__N_127upsample_linear1d_out_frameIN3c104HalfEfEEviT0_bN5torch10headeronly6detail27GenericPackedTensorAccessorINS8_14TensorAccessorINS3_8ArrayRefIlEEKT_Lm2ENS7_16DefaultPtrTraitsElEENS_6detail16IndexBoundsCheckILm3ElEESE_Lm3ESF_lEENS9_INSA_ISC_SD_Lm2ESF_lEESJ_SD_Lm3ESF_lEE.has_indirect_call, 0
	.section	.AMDGPU.csdata,"",@progbits
; Kernel info:
; codeLenInByte = 956
; TotalNumSgprs: 24
; NumVgprs: 14
; ScratchSize: 0
; MemoryBound: 0
; FloatMode: 240
; IeeeMode: 1
; LDSByteSize: 0 bytes/workgroup (compile time only)
; SGPRBlocks: 0
; VGPRBlocks: 0
; NumSGPRsForWavesPerEU: 24
; NumVGPRsForWavesPerEU: 14
; NamedBarCnt: 0
; Occupancy: 16
; WaveLimiterHint : 1
; COMPUTE_PGM_RSRC2:SCRATCH_EN: 0
; COMPUTE_PGM_RSRC2:USER_SGPR: 2
; COMPUTE_PGM_RSRC2:TRAP_HANDLER: 0
; COMPUTE_PGM_RSRC2:TGID_X_EN: 1
; COMPUTE_PGM_RSRC2:TGID_Y_EN: 0
; COMPUTE_PGM_RSRC2:TGID_Z_EN: 0
; COMPUTE_PGM_RSRC2:TIDIG_COMP_CNT: 0
	.section	.text._ZN2at6native12_GLOBAL__N_127upsample_linear1d_out_frameIN3c108BFloat16EfEEviT0_bN5torch10headeronly6detail27GenericPackedTensorAccessorINS8_14TensorAccessorINS3_8ArrayRefIlEEKT_Lm2ENS7_16DefaultPtrTraitsElEENS_6detail16IndexBoundsCheckILm3ElEESE_Lm3ESF_lEENS9_INSA_ISC_SD_Lm2ESF_lEESJ_SD_Lm3ESF_lEE,"axG",@progbits,_ZN2at6native12_GLOBAL__N_127upsample_linear1d_out_frameIN3c108BFloat16EfEEviT0_bN5torch10headeronly6detail27GenericPackedTensorAccessorINS8_14TensorAccessorINS3_8ArrayRefIlEEKT_Lm2ENS7_16DefaultPtrTraitsElEENS_6detail16IndexBoundsCheckILm3ElEESE_Lm3ESF_lEENS9_INSA_ISC_SD_Lm2ESF_lEESJ_SD_Lm3ESF_lEE,comdat
	.globl	_ZN2at6native12_GLOBAL__N_127upsample_linear1d_out_frameIN3c108BFloat16EfEEviT0_bN5torch10headeronly6detail27GenericPackedTensorAccessorINS8_14TensorAccessorINS3_8ArrayRefIlEEKT_Lm2ENS7_16DefaultPtrTraitsElEENS_6detail16IndexBoundsCheckILm3ElEESE_Lm3ESF_lEENS9_INSA_ISC_SD_Lm2ESF_lEESJ_SD_Lm3ESF_lEE ; -- Begin function _ZN2at6native12_GLOBAL__N_127upsample_linear1d_out_frameIN3c108BFloat16EfEEviT0_bN5torch10headeronly6detail27GenericPackedTensorAccessorINS8_14TensorAccessorINS3_8ArrayRefIlEEKT_Lm2ENS7_16DefaultPtrTraitsElEENS_6detail16IndexBoundsCheckILm3ElEESE_Lm3ESF_lEENS9_INSA_ISC_SD_Lm2ESF_lEESJ_SD_Lm3ESF_lEE
	.p2align	8
	.type	_ZN2at6native12_GLOBAL__N_127upsample_linear1d_out_frameIN3c108BFloat16EfEEviT0_bN5torch10headeronly6detail27GenericPackedTensorAccessorINS8_14TensorAccessorINS3_8ArrayRefIlEEKT_Lm2ENS7_16DefaultPtrTraitsElEENS_6detail16IndexBoundsCheckILm3ElEESE_Lm3ESF_lEENS9_INSA_ISC_SD_Lm2ESF_lEESJ_SD_Lm3ESF_lEE,@function
_ZN2at6native12_GLOBAL__N_127upsample_linear1d_out_frameIN3c108BFloat16EfEEviT0_bN5torch10headeronly6detail27GenericPackedTensorAccessorINS8_14TensorAccessorINS3_8ArrayRefIlEEKT_Lm2ENS7_16DefaultPtrTraitsElEENS_6detail16IndexBoundsCheckILm3ElEESE_Lm3ESF_lEENS9_INSA_ISC_SD_Lm2ESF_lEESJ_SD_Lm3ESF_lEE: ; @_ZN2at6native12_GLOBAL__N_127upsample_linear1d_out_frameIN3c108BFloat16EfEEviT0_bN5torch10headeronly6detail27GenericPackedTensorAccessorINS8_14TensorAccessorINS3_8ArrayRefIlEEKT_Lm2ENS7_16DefaultPtrTraitsElEENS_6detail16IndexBoundsCheckILm3ElEESE_Lm3ESF_lEENS9_INSA_ISC_SD_Lm2ESF_lEESJ_SD_Lm3ESF_lEE
; %bb.0:
	s_clause 0x1
	s_load_b32 s2, s[0:1], 0x8c
	s_load_b96 s[8:10], s[0:1], 0x0
	s_bfe_u32 s3, ttmp6, 0x4000c
	s_and_b32 s4, ttmp6, 15
	s_add_co_i32 s3, s3, 1
	s_getreg_b32 s5, hwreg(HW_REG_IB_STS2, 6, 4)
	s_mul_i32 s3, ttmp9, s3
	s_delay_alu instid0(SALU_CYCLE_1) | instskip(SKIP_4) | instid1(SALU_CYCLE_1)
	s_add_co_i32 s4, s4, s3
	s_wait_kmcnt 0x0
	s_and_b32 s2, s2, 0xffff
	s_cmp_eq_u32 s5, 0
	s_cselect_b32 s3, ttmp9, s4
	v_mad_u32 v0, s3, s2, v0
	s_mov_b32 s2, exec_lo
	s_delay_alu instid0(VALU_DEP_1)
	v_cmpx_gt_i32_e64 s8, v0
	s_cbranch_execz .LBB3_19
; %bb.1:
	s_load_b32 s3, s[0:1], 0x60
	s_wait_kmcnt 0x0
	s_abs_i32 s8, s3
	s_delay_alu instid0(SALU_CYCLE_1) | instskip(SKIP_1) | instid1(SALU_CYCLE_2)
	s_cvt_f32_u32 s2, s8
	s_sub_co_i32 s4, 0, s8
	v_rcp_iflag_f32_e32 v1, s2
	v_nop
	s_delay_alu instid0(TRANS32_DEP_1) | instskip(SKIP_2) | instid1(VALU_DEP_1)
	v_readfirstlane_b32 s2, v1
	v_sub_nc_u32_e32 v1, 0, v0
	s_mul_f32 s2, s2, 0x4f7ffffe
	v_dual_ashrrev_i32 v0, 31, v0 :: v_dual_max_i32 v1, v0, v1
	s_delay_alu instid0(SALU_CYCLE_2) | instskip(NEXT) | instid1(SALU_CYCLE_3)
	s_cvt_u32_f32 s2, s2
	s_mul_i32 s4, s4, s2
	s_delay_alu instid0(SALU_CYCLE_1) | instskip(NEXT) | instid1(SALU_CYCLE_1)
	s_mul_hi_u32 s4, s2, s4
	s_add_co_i32 s2, s2, s4
	s_delay_alu instid0(SALU_CYCLE_1) | instskip(SKIP_3) | instid1(VALU_DEP_1)
	v_mul_hi_u32 v2, v1, s2
	s_clause 0x1
	s_load_b32 s2, s[0:1], 0x28
	s_load_b128 s[4:7], s[0:1], 0x18
	v_mul_lo_u32 v2, v2, s8
	s_wait_kmcnt 0x0
	s_cmp_lg_u32 s2, s3
	s_mov_b32 s3, -1
	s_delay_alu instid0(VALU_DEP_1) | instskip(NEXT) | instid1(VALU_DEP_1)
	v_sub_nc_u32_e32 v1, v1, v2
	v_subrev_nc_u32_e32 v2, s8, v1
	v_cmp_le_u32_e32 vcc_lo, s8, v1
	s_delay_alu instid0(VALU_DEP_2) | instskip(NEXT) | instid1(VALU_DEP_1)
	v_cndmask_b32_e32 v1, v1, v2, vcc_lo
	v_subrev_nc_u32_e32 v2, s8, v1
	v_cmp_le_u32_e32 vcc_lo, s8, v1
	s_delay_alu instid0(VALU_DEP_2) | instskip(NEXT) | instid1(VALU_DEP_1)
	v_cndmask_b32_e32 v1, v1, v2, vcc_lo
	v_xor_b32_e32 v1, v1, v0
	s_delay_alu instid0(VALU_DEP_1)
	v_sub_nc_u32_e32 v0, v1, v0
	s_cbranch_scc0 .LBB3_13
; %bb.2:
	s_delay_alu instid0(VALU_DEP_1)
	v_cvt_f32_i32_e32 v1, v0
	s_bitcmp0_b32 s10, 0
	s_mov_b32 s3, 0
	s_cbranch_scc0 .LBB3_4
; %bb.3:
	s_delay_alu instid0(VALU_DEP_1) | instskip(NEXT) | instid1(VALU_DEP_1)
	v_add_f32_e32 v2, 0.5, v1
	v_fma_f32 v2, s9, v2, -0.5
	s_delay_alu instid0(VALU_DEP_1)
	v_cmp_ngt_f32_e32 vcc_lo, 0, v2
	v_cndmask_b32_e32 v2, 0, v2, vcc_lo
	s_and_not1_b32 vcc_lo, exec_lo, s3
	s_cbranch_vccz .LBB3_5
	s_branch .LBB3_6
.LBB3_4:
                                        ; implicit-def: $vgpr2
.LBB3_5:
	s_delay_alu instid0(VALU_DEP_1)
	v_mul_f32_e32 v2, s9, v1
.LBB3_6:
	s_cmp_lt_i32 s4, 1
	s_cbranch_scc1 .LBB3_12
; %bb.7:
	s_clause 0x1
	s_load_b64 s[20:21], s[0:1], 0x78
	s_load_b256 s[12:19], s[0:1], 0x30
	v_cvt_i32_f32_e32 v4, v2
	s_add_co_i32 s2, s2, -1
	s_load_b128 s[8:11], s[0:1], 0x68
	s_cmp_gt_i32 s6, 0
	s_mov_b32 s5, 0
	v_cmp_gt_i32_e32 vcc_lo, s2, v4
	s_cselect_b32 s7, -1, 0
	v_add_co_ci_u32_e64 v6, null, 0, v4, vcc_lo
	s_delay_alu instid0(VALU_DEP_1) | instskip(SKIP_1) | instid1(VALU_DEP_1)
	v_dual_ashrrev_i32 v1, 31, v0 :: v_dual_ashrrev_i32 v7, 31, v6
	s_wait_kmcnt 0x0
	v_mul_u64_e32 v[8:9], s[20:21], v[0:1]
	v_cvt_f32_i32_e32 v1, v4
	v_ashrrev_i32_e32 v5, 31, v4
	v_mul_u64_e32 v[12:13], s[16:17], v[6:7]
	s_delay_alu instid0(VALU_DEP_3) | instskip(NEXT) | instid1(VALU_DEP_3)
	v_sub_f32_e32 v3, v2, v1
	v_mul_u64_e32 v[10:11], s[16:17], v[4:5]
	s_load_b64 s[16:17], s[0:1], 0x10
	s_lshl_b64 s[2:3], s[8:9], 1
	s_lshl_b64 s[8:9], s[10:11], 1
	v_sub_f32_e32 v2, 1.0, v3
	s_lshl_b64 s[10:11], s[12:13], 1
	s_lshl_b64 s[12:13], s[14:15], 1
	v_lshl_add_u64 v[4:5], v[8:9], 1, s[18:19]
	s_wait_kmcnt 0x0
	v_lshl_add_u64 v[8:9], v[12:13], 1, s[16:17]
	s_delay_alu instid0(VALU_DEP_4)
	v_lshl_add_u64 v[6:7], v[10:11], 1, s[16:17]
	s_branch .LBB3_9
.LBB3_8:                                ;   in Loop: Header=BB3_9 Depth=1
	v_add_nc_u64_e32 v[4:5], s[2:3], v[4:5]
	v_add_nc_u64_e32 v[6:7], s[10:11], v[6:7]
	;; [unrolled: 1-line block ×3, first 2 shown]
	s_add_co_i32 s5, s5, 1
	s_delay_alu instid0(SALU_CYCLE_1)
	s_cmp_eq_u32 s5, s4
	s_cbranch_scc1 .LBB3_12
.LBB3_9:                                ; =>This Loop Header: Depth=1
                                        ;     Child Loop BB3_11 Depth 2
	s_and_not1_b32 vcc_lo, exec_lo, s7
	s_cbranch_vccnz .LBB3_8
; %bb.10:                               ;   in Loop: Header=BB3_9 Depth=1
	v_mov_b64_e32 v[10:11], v[4:5]
	s_mov_b64 s[14:15], 0
	s_mov_b32 s16, s6
.LBB3_11:                               ;   Parent Loop BB3_9 Depth=1
                                        ; =>  This Inner Loop Header: Depth=2
	v_add_nc_u64_e32 v[12:13], s[14:15], v[8:9]
	v_add_nc_u64_e32 v[14:15], s[14:15], v[6:7]
	s_add_co_i32 s16, s16, -1
	s_add_nc_u64 s[14:15], s[14:15], s[12:13]
	s_cmp_eq_u32 s16, 0
	global_load_u16 v1, v[12:13], off
	global_load_u16 v16, v[14:15], off
	s_wait_loadcnt 0x0
	s_wait_xcnt 0x1
	v_dual_lshlrev_b32 v13, 16, v1 :: v_dual_lshlrev_b32 v12, 16, v16
	s_delay_alu instid0(VALU_DEP_1) | instskip(NEXT) | instid1(VALU_DEP_1)
	v_pk_mul_f32 v[12:13], v[2:3], v[12:13]
	v_add_f32_e32 v1, v12, v13
	s_delay_alu instid0(VALU_DEP_1) | instskip(NEXT) | instid1(VALU_DEP_1)
	v_bfe_u32 v12, v1, 16, 1
	v_add3_u32 v12, v1, v12, 0x7fff
	s_delay_alu instid0(VALU_DEP_1) | instskip(SKIP_1) | instid1(VALU_DEP_2)
	v_lshrrev_b32_e32 v12, 16, v12
	v_cmp_o_f32_e32 vcc_lo, v1, v1
	v_cndmask_b32_e32 v1, 0x7fc0, v12, vcc_lo
	global_store_b16 v[10:11], v1, off
	s_wait_xcnt 0x0
	v_add_nc_u64_e32 v[10:11], s[8:9], v[10:11]
	s_cbranch_scc0 .LBB3_11
	s_branch .LBB3_8
.LBB3_12:
	s_mov_b32 s3, 0
.LBB3_13:
	s_delay_alu instid0(SALU_CYCLE_1)
	s_and_b32 vcc_lo, exec_lo, s3
	s_cbranch_vccz .LBB3_19
; %bb.14:
	s_cmp_lt_i32 s4, 1
	s_cbranch_scc1 .LBB3_19
; %bb.15:
	s_clause 0x1
	s_load_b256 s[8:15], s[0:1], 0x30
	s_load_b64 s[2:3], s[0:1], 0x78
	v_ashrrev_i32_e32 v1, 31, v0
	s_load_b128 s[16:19], s[0:1], 0x68
	s_cmp_gt_i32 s6, 0
	s_mov_b32 s5, 0
	s_cselect_b32 s7, -1, 0
	s_wait_kmcnt 0x0
	v_mul_u64_e32 v[2:3], s[12:13], v[0:1]
	v_mul_u64_e32 v[4:5], s[2:3], v[0:1]
	s_load_b64 s[2:3], s[0:1], 0x10
	s_wait_xcnt 0x0
	s_lshl_b64 s[0:1], s[16:17], 1
	s_lshl_b64 s[8:9], s[8:9], 1
	;; [unrolled: 1-line block ×3, first 2 shown]
	s_wait_kmcnt 0x0
	s_delay_alu instid0(VALU_DEP_2) | instskip(NEXT) | instid1(VALU_DEP_2)
	v_lshl_add_u64 v[0:1], v[2:3], 1, s[2:3]
	v_lshl_add_u64 v[2:3], v[4:5], 1, s[14:15]
	s_lshl_b64 s[2:3], s[18:19], 1
	s_branch .LBB3_17
.LBB3_16:                               ;   in Loop: Header=BB3_17 Depth=1
	v_add_nc_u64_e32 v[2:3], s[0:1], v[2:3]
	v_add_nc_u64_e32 v[0:1], s[8:9], v[0:1]
	s_add_co_i32 s5, s5, 1
	s_delay_alu instid0(SALU_CYCLE_1)
	s_cmp_eq_u32 s5, s4
	s_cbranch_scc1 .LBB3_19
.LBB3_17:                               ; =>This Loop Header: Depth=1
                                        ;     Child Loop BB3_18 Depth 2
	s_delay_alu instid0(VALU_DEP_1) | instskip(NEXT) | instid1(VALU_DEP_2)
	v_mov_b64_e32 v[4:5], v[0:1]
	v_mov_b64_e32 v[6:7], v[2:3]
	s_and_not1_b32 vcc_lo, exec_lo, s7
	s_mov_b32 s12, s6
	s_cbranch_vccnz .LBB3_16
.LBB3_18:                               ;   Parent Loop BB3_17 Depth=1
                                        ; =>  This Inner Loop Header: Depth=2
	global_load_u16 v8, v[4:5], off
	s_wait_xcnt 0x0
	v_add_nc_u64_e32 v[4:5], s[10:11], v[4:5]
	s_add_co_i32 s12, s12, -1
	s_delay_alu instid0(SALU_CYCLE_1)
	s_cmp_eq_u32 s12, 0
	s_wait_loadcnt 0x0
	global_store_b16 v[6:7], v8, off
	s_wait_xcnt 0x0
	v_add_nc_u64_e32 v[6:7], s[2:3], v[6:7]
	s_cbranch_scc0 .LBB3_18
	s_branch .LBB3_16
.LBB3_19:
	s_endpgm
	.section	.rodata,"a",@progbits
	.p2align	6, 0x0
	.amdhsa_kernel _ZN2at6native12_GLOBAL__N_127upsample_linear1d_out_frameIN3c108BFloat16EfEEviT0_bN5torch10headeronly6detail27GenericPackedTensorAccessorINS8_14TensorAccessorINS3_8ArrayRefIlEEKT_Lm2ENS7_16DefaultPtrTraitsElEENS_6detail16IndexBoundsCheckILm3ElEESE_Lm3ESF_lEENS9_INSA_ISC_SD_Lm2ESF_lEESJ_SD_Lm3ESF_lEE
		.amdhsa_group_segment_fixed_size 0
		.amdhsa_private_segment_fixed_size 0
		.amdhsa_kernarg_size 384
		.amdhsa_user_sgpr_count 2
		.amdhsa_user_sgpr_dispatch_ptr 0
		.amdhsa_user_sgpr_queue_ptr 0
		.amdhsa_user_sgpr_kernarg_segment_ptr 1
		.amdhsa_user_sgpr_dispatch_id 0
		.amdhsa_user_sgpr_kernarg_preload_length 0
		.amdhsa_user_sgpr_kernarg_preload_offset 0
		.amdhsa_user_sgpr_private_segment_size 0
		.amdhsa_wavefront_size32 1
		.amdhsa_uses_dynamic_stack 0
		.amdhsa_enable_private_segment 0
		.amdhsa_system_sgpr_workgroup_id_x 1
		.amdhsa_system_sgpr_workgroup_id_y 0
		.amdhsa_system_sgpr_workgroup_id_z 0
		.amdhsa_system_sgpr_workgroup_info 0
		.amdhsa_system_vgpr_workitem_id 0
		.amdhsa_next_free_vgpr 17
		.amdhsa_next_free_sgpr 22
		.amdhsa_named_barrier_count 0
		.amdhsa_reserve_vcc 1
		.amdhsa_float_round_mode_32 0
		.amdhsa_float_round_mode_16_64 0
		.amdhsa_float_denorm_mode_32 3
		.amdhsa_float_denorm_mode_16_64 3
		.amdhsa_fp16_overflow 0
		.amdhsa_memory_ordered 1
		.amdhsa_forward_progress 1
		.amdhsa_inst_pref_size 8
		.amdhsa_round_robin_scheduling 0
		.amdhsa_exception_fp_ieee_invalid_op 0
		.amdhsa_exception_fp_denorm_src 0
		.amdhsa_exception_fp_ieee_div_zero 0
		.amdhsa_exception_fp_ieee_overflow 0
		.amdhsa_exception_fp_ieee_underflow 0
		.amdhsa_exception_fp_ieee_inexact 0
		.amdhsa_exception_int_div_zero 0
	.end_amdhsa_kernel
	.section	.text._ZN2at6native12_GLOBAL__N_127upsample_linear1d_out_frameIN3c108BFloat16EfEEviT0_bN5torch10headeronly6detail27GenericPackedTensorAccessorINS8_14TensorAccessorINS3_8ArrayRefIlEEKT_Lm2ENS7_16DefaultPtrTraitsElEENS_6detail16IndexBoundsCheckILm3ElEESE_Lm3ESF_lEENS9_INSA_ISC_SD_Lm2ESF_lEESJ_SD_Lm3ESF_lEE,"axG",@progbits,_ZN2at6native12_GLOBAL__N_127upsample_linear1d_out_frameIN3c108BFloat16EfEEviT0_bN5torch10headeronly6detail27GenericPackedTensorAccessorINS8_14TensorAccessorINS3_8ArrayRefIlEEKT_Lm2ENS7_16DefaultPtrTraitsElEENS_6detail16IndexBoundsCheckILm3ElEESE_Lm3ESF_lEENS9_INSA_ISC_SD_Lm2ESF_lEESJ_SD_Lm3ESF_lEE,comdat
.Lfunc_end3:
	.size	_ZN2at6native12_GLOBAL__N_127upsample_linear1d_out_frameIN3c108BFloat16EfEEviT0_bN5torch10headeronly6detail27GenericPackedTensorAccessorINS8_14TensorAccessorINS3_8ArrayRefIlEEKT_Lm2ENS7_16DefaultPtrTraitsElEENS_6detail16IndexBoundsCheckILm3ElEESE_Lm3ESF_lEENS9_INSA_ISC_SD_Lm2ESF_lEESJ_SD_Lm3ESF_lEE, .Lfunc_end3-_ZN2at6native12_GLOBAL__N_127upsample_linear1d_out_frameIN3c108BFloat16EfEEviT0_bN5torch10headeronly6detail27GenericPackedTensorAccessorINS8_14TensorAccessorINS3_8ArrayRefIlEEKT_Lm2ENS7_16DefaultPtrTraitsElEENS_6detail16IndexBoundsCheckILm3ElEESE_Lm3ESF_lEENS9_INSA_ISC_SD_Lm2ESF_lEESJ_SD_Lm3ESF_lEE
                                        ; -- End function
	.set _ZN2at6native12_GLOBAL__N_127upsample_linear1d_out_frameIN3c108BFloat16EfEEviT0_bN5torch10headeronly6detail27GenericPackedTensorAccessorINS8_14TensorAccessorINS3_8ArrayRefIlEEKT_Lm2ENS7_16DefaultPtrTraitsElEENS_6detail16IndexBoundsCheckILm3ElEESE_Lm3ESF_lEENS9_INSA_ISC_SD_Lm2ESF_lEESJ_SD_Lm3ESF_lEE.num_vgpr, 17
	.set _ZN2at6native12_GLOBAL__N_127upsample_linear1d_out_frameIN3c108BFloat16EfEEviT0_bN5torch10headeronly6detail27GenericPackedTensorAccessorINS8_14TensorAccessorINS3_8ArrayRefIlEEKT_Lm2ENS7_16DefaultPtrTraitsElEENS_6detail16IndexBoundsCheckILm3ElEESE_Lm3ESF_lEENS9_INSA_ISC_SD_Lm2ESF_lEESJ_SD_Lm3ESF_lEE.num_agpr, 0
	.set _ZN2at6native12_GLOBAL__N_127upsample_linear1d_out_frameIN3c108BFloat16EfEEviT0_bN5torch10headeronly6detail27GenericPackedTensorAccessorINS8_14TensorAccessorINS3_8ArrayRefIlEEKT_Lm2ENS7_16DefaultPtrTraitsElEENS_6detail16IndexBoundsCheckILm3ElEESE_Lm3ESF_lEENS9_INSA_ISC_SD_Lm2ESF_lEESJ_SD_Lm3ESF_lEE.numbered_sgpr, 22
	.set _ZN2at6native12_GLOBAL__N_127upsample_linear1d_out_frameIN3c108BFloat16EfEEviT0_bN5torch10headeronly6detail27GenericPackedTensorAccessorINS8_14TensorAccessorINS3_8ArrayRefIlEEKT_Lm2ENS7_16DefaultPtrTraitsElEENS_6detail16IndexBoundsCheckILm3ElEESE_Lm3ESF_lEENS9_INSA_ISC_SD_Lm2ESF_lEESJ_SD_Lm3ESF_lEE.num_named_barrier, 0
	.set _ZN2at6native12_GLOBAL__N_127upsample_linear1d_out_frameIN3c108BFloat16EfEEviT0_bN5torch10headeronly6detail27GenericPackedTensorAccessorINS8_14TensorAccessorINS3_8ArrayRefIlEEKT_Lm2ENS7_16DefaultPtrTraitsElEENS_6detail16IndexBoundsCheckILm3ElEESE_Lm3ESF_lEENS9_INSA_ISC_SD_Lm2ESF_lEESJ_SD_Lm3ESF_lEE.private_seg_size, 0
	.set _ZN2at6native12_GLOBAL__N_127upsample_linear1d_out_frameIN3c108BFloat16EfEEviT0_bN5torch10headeronly6detail27GenericPackedTensorAccessorINS8_14TensorAccessorINS3_8ArrayRefIlEEKT_Lm2ENS7_16DefaultPtrTraitsElEENS_6detail16IndexBoundsCheckILm3ElEESE_Lm3ESF_lEENS9_INSA_ISC_SD_Lm2ESF_lEESJ_SD_Lm3ESF_lEE.uses_vcc, 1
	.set _ZN2at6native12_GLOBAL__N_127upsample_linear1d_out_frameIN3c108BFloat16EfEEviT0_bN5torch10headeronly6detail27GenericPackedTensorAccessorINS8_14TensorAccessorINS3_8ArrayRefIlEEKT_Lm2ENS7_16DefaultPtrTraitsElEENS_6detail16IndexBoundsCheckILm3ElEESE_Lm3ESF_lEENS9_INSA_ISC_SD_Lm2ESF_lEESJ_SD_Lm3ESF_lEE.uses_flat_scratch, 0
	.set _ZN2at6native12_GLOBAL__N_127upsample_linear1d_out_frameIN3c108BFloat16EfEEviT0_bN5torch10headeronly6detail27GenericPackedTensorAccessorINS8_14TensorAccessorINS3_8ArrayRefIlEEKT_Lm2ENS7_16DefaultPtrTraitsElEENS_6detail16IndexBoundsCheckILm3ElEESE_Lm3ESF_lEENS9_INSA_ISC_SD_Lm2ESF_lEESJ_SD_Lm3ESF_lEE.has_dyn_sized_stack, 0
	.set _ZN2at6native12_GLOBAL__N_127upsample_linear1d_out_frameIN3c108BFloat16EfEEviT0_bN5torch10headeronly6detail27GenericPackedTensorAccessorINS8_14TensorAccessorINS3_8ArrayRefIlEEKT_Lm2ENS7_16DefaultPtrTraitsElEENS_6detail16IndexBoundsCheckILm3ElEESE_Lm3ESF_lEENS9_INSA_ISC_SD_Lm2ESF_lEESJ_SD_Lm3ESF_lEE.has_recursion, 0
	.set _ZN2at6native12_GLOBAL__N_127upsample_linear1d_out_frameIN3c108BFloat16EfEEviT0_bN5torch10headeronly6detail27GenericPackedTensorAccessorINS8_14TensorAccessorINS3_8ArrayRefIlEEKT_Lm2ENS7_16DefaultPtrTraitsElEENS_6detail16IndexBoundsCheckILm3ElEESE_Lm3ESF_lEENS9_INSA_ISC_SD_Lm2ESF_lEESJ_SD_Lm3ESF_lEE.has_indirect_call, 0
	.section	.AMDGPU.csdata,"",@progbits
; Kernel info:
; codeLenInByte = 1000
; TotalNumSgprs: 24
; NumVgprs: 17
; ScratchSize: 0
; MemoryBound: 0
; FloatMode: 240
; IeeeMode: 1
; LDSByteSize: 0 bytes/workgroup (compile time only)
; SGPRBlocks: 0
; VGPRBlocks: 1
; NumSGPRsForWavesPerEU: 24
; NumVGPRsForWavesPerEU: 17
; NamedBarCnt: 0
; Occupancy: 16
; WaveLimiterHint : 1
; COMPUTE_PGM_RSRC2:SCRATCH_EN: 0
; COMPUTE_PGM_RSRC2:USER_SGPR: 2
; COMPUTE_PGM_RSRC2:TRAP_HANDLER: 0
; COMPUTE_PGM_RSRC2:TGID_X_EN: 1
; COMPUTE_PGM_RSRC2:TGID_Y_EN: 0
; COMPUTE_PGM_RSRC2:TGID_Z_EN: 0
; COMPUTE_PGM_RSRC2:TIDIG_COMP_CNT: 0
	.section	.text._ZN2at6native12_GLOBAL__N_136upsample_linear1d_out_frame_backwardIddEEviT0_bN5torch10headeronly6detail27GenericPackedTensorAccessorINS6_14TensorAccessorIN3c108ArrayRefIlEET_Lm2ENS5_16DefaultPtrTraitsElEENS_6detail16IndexBoundsCheckILm3ElEESC_Lm3ESD_lEENS7_INS8_ISB_KSC_Lm2ESD_lEESH_SJ_Lm3ESD_lEE,"axG",@progbits,_ZN2at6native12_GLOBAL__N_136upsample_linear1d_out_frame_backwardIddEEviT0_bN5torch10headeronly6detail27GenericPackedTensorAccessorINS6_14TensorAccessorIN3c108ArrayRefIlEET_Lm2ENS5_16DefaultPtrTraitsElEENS_6detail16IndexBoundsCheckILm3ElEESC_Lm3ESD_lEENS7_INS8_ISB_KSC_Lm2ESD_lEESH_SJ_Lm3ESD_lEE,comdat
	.globl	_ZN2at6native12_GLOBAL__N_136upsample_linear1d_out_frame_backwardIddEEviT0_bN5torch10headeronly6detail27GenericPackedTensorAccessorINS6_14TensorAccessorIN3c108ArrayRefIlEET_Lm2ENS5_16DefaultPtrTraitsElEENS_6detail16IndexBoundsCheckILm3ElEESC_Lm3ESD_lEENS7_INS8_ISB_KSC_Lm2ESD_lEESH_SJ_Lm3ESD_lEE ; -- Begin function _ZN2at6native12_GLOBAL__N_136upsample_linear1d_out_frame_backwardIddEEviT0_bN5torch10headeronly6detail27GenericPackedTensorAccessorINS6_14TensorAccessorIN3c108ArrayRefIlEET_Lm2ENS5_16DefaultPtrTraitsElEENS_6detail16IndexBoundsCheckILm3ElEESC_Lm3ESD_lEENS7_INS8_ISB_KSC_Lm2ESD_lEESH_SJ_Lm3ESD_lEE
	.p2align	8
	.type	_ZN2at6native12_GLOBAL__N_136upsample_linear1d_out_frame_backwardIddEEviT0_bN5torch10headeronly6detail27GenericPackedTensorAccessorINS6_14TensorAccessorIN3c108ArrayRefIlEET_Lm2ENS5_16DefaultPtrTraitsElEENS_6detail16IndexBoundsCheckILm3ElEESC_Lm3ESD_lEENS7_INS8_ISB_KSC_Lm2ESD_lEESH_SJ_Lm3ESD_lEE,@function
_ZN2at6native12_GLOBAL__N_136upsample_linear1d_out_frame_backwardIddEEviT0_bN5torch10headeronly6detail27GenericPackedTensorAccessorINS6_14TensorAccessorIN3c108ArrayRefIlEET_Lm2ENS5_16DefaultPtrTraitsElEENS_6detail16IndexBoundsCheckILm3ElEESC_Lm3ESD_lEENS7_INS8_ISB_KSC_Lm2ESD_lEESH_SJ_Lm3ESD_lEE: ; @_ZN2at6native12_GLOBAL__N_136upsample_linear1d_out_frame_backwardIddEEviT0_bN5torch10headeronly6detail27GenericPackedTensorAccessorINS6_14TensorAccessorIN3c108ArrayRefIlEET_Lm2ENS5_16DefaultPtrTraitsElEENS_6detail16IndexBoundsCheckILm3ElEESC_Lm3ESD_lEENS7_INS8_ISB_KSC_Lm2ESD_lEESH_SJ_Lm3ESD_lEE
; %bb.0:
	s_clause 0x1
	s_load_b32 s2, s[0:1], 0x94
	s_load_b32 s3, s[0:1], 0x0
	s_bfe_u32 s4, ttmp6, 0x4000c
	s_and_b32 s5, ttmp6, 15
	s_add_co_i32 s4, s4, 1
	s_getreg_b32 s6, hwreg(HW_REG_IB_STS2, 6, 4)
	s_mul_i32 s4, ttmp9, s4
	s_delay_alu instid0(SALU_CYCLE_1) | instskip(SKIP_4) | instid1(SALU_CYCLE_1)
	s_add_co_i32 s5, s5, s4
	s_wait_kmcnt 0x0
	s_and_b32 s2, s2, 0xffff
	s_cmp_eq_u32 s6, 0
	s_cselect_b32 s4, ttmp9, s5
	v_mad_u32 v0, s4, s2, v0
	s_mov_b32 s2, exec_lo
	s_delay_alu instid0(VALU_DEP_1)
	v_cmpx_gt_i32_e64 s3, v0
	s_cbranch_execz .LBB4_19
; %bb.1:
	s_load_b32 s3, s[0:1], 0x68
	s_wait_kmcnt 0x0
	s_abs_i32 s8, s3
	s_delay_alu instid0(SALU_CYCLE_1) | instskip(SKIP_1) | instid1(SALU_CYCLE_2)
	s_cvt_f32_u32 s2, s8
	s_sub_co_i32 s4, 0, s8
	v_rcp_iflag_f32_e32 v1, s2
	v_nop
	s_delay_alu instid0(TRANS32_DEP_1) | instskip(SKIP_2) | instid1(VALU_DEP_1)
	v_readfirstlane_b32 s2, v1
	v_sub_nc_u32_e32 v1, 0, v0
	s_mul_f32 s2, s2, 0x4f7ffffe
	v_dual_ashrrev_i32 v0, 31, v0 :: v_dual_max_i32 v1, v0, v1
	s_delay_alu instid0(SALU_CYCLE_2) | instskip(NEXT) | instid1(SALU_CYCLE_3)
	s_cvt_u32_f32 s2, s2
	s_mul_i32 s4, s4, s2
	s_delay_alu instid0(SALU_CYCLE_1) | instskip(NEXT) | instid1(SALU_CYCLE_1)
	s_mul_hi_u32 s4, s2, s4
	s_add_co_i32 s2, s2, s4
	s_delay_alu instid0(SALU_CYCLE_1) | instskip(SKIP_3) | instid1(VALU_DEP_1)
	v_mul_hi_u32 v2, v1, s2
	s_clause 0x1
	s_load_b32 s2, s[0:1], 0x30
	s_load_b128 s[4:7], s[0:1], 0x20
	v_mul_lo_u32 v2, v2, s8
	s_wait_kmcnt 0x0
	s_cmp_lg_u32 s2, s3
	s_mov_b32 s3, -1
	s_delay_alu instid0(VALU_DEP_1) | instskip(NEXT) | instid1(VALU_DEP_1)
	v_sub_nc_u32_e32 v1, v1, v2
	v_subrev_nc_u32_e32 v2, s8, v1
	v_cmp_le_u32_e32 vcc_lo, s8, v1
	s_delay_alu instid0(VALU_DEP_2) | instskip(NEXT) | instid1(VALU_DEP_1)
	v_cndmask_b32_e32 v1, v1, v2, vcc_lo
	v_subrev_nc_u32_e32 v2, s8, v1
	v_cmp_le_u32_e32 vcc_lo, s8, v1
	s_delay_alu instid0(VALU_DEP_2) | instskip(NEXT) | instid1(VALU_DEP_1)
	v_cndmask_b32_e32 v1, v1, v2, vcc_lo
	v_xor_b32_e32 v1, v1, v0
	s_delay_alu instid0(VALU_DEP_1)
	v_sub_nc_u32_e32 v0, v1, v0
	s_cbranch_scc0 .LBB4_13
; %bb.2:
	s_delay_alu instid0(VALU_DEP_1)
	v_cvt_f64_i32_e32 v[2:3], v0
	s_load_b96 s[8:10], s[0:1], 0x8
	s_mov_b32 s3, 0
	s_wait_kmcnt 0x0
	s_bitcmp0_b32 s10, 0
	s_cbranch_scc0 .LBB4_4
; %bb.3:
	s_delay_alu instid0(VALU_DEP_1) | instskip(NEXT) | instid1(VALU_DEP_1)
	v_add_f64_e32 v[4:5], 0.5, v[2:3]
	v_fma_f64 v[4:5], s[8:9], v[4:5], -0.5
	s_delay_alu instid0(VALU_DEP_1)
	v_cmp_ngt_f64_e32 vcc_lo, 0, v[4:5]
	v_dual_cndmask_b32 v5, 0, v5 :: v_dual_cndmask_b32 v4, 0, v4
	s_and_not1_b32 vcc_lo, exec_lo, s3
	s_cbranch_vccz .LBB4_5
	s_branch .LBB4_6
.LBB4_4:
                                        ; implicit-def: $vgpr4_vgpr5
.LBB4_5:
	s_delay_alu instid0(VALU_DEP_1)
	v_mul_f64_e32 v[4:5], s[8:9], v[2:3]
.LBB4_6:
	s_cmp_lt_i32 s4, 1
	s_cbranch_scc1 .LBB4_12
; %bb.7:
	s_delay_alu instid0(VALU_DEP_1)
	v_cvt_i32_f64_e32 v6, v[4:5]
	s_clause 0x1
	s_load_b64 s[20:21], s[0:1], 0x80
	s_load_b256 s[8:15], s[0:1], 0x38
	s_add_co_i32 s2, s2, -1
	s_load_b128 s[16:19], s[0:1], 0x70
	s_cmp_gt_i32 s6, 0
	s_mov_b32 s5, 0
	s_cselect_b32 s7, -1, 0
	v_ashrrev_i32_e32 v1, 31, v0
	s_wait_kmcnt 0x0
	s_delay_alu instid0(VALU_DEP_1) | instskip(NEXT) | instid1(VALU_DEP_3)
	v_mul_u64_e32 v[8:9], s[20:21], v[0:1]
	v_cvt_f64_i32_e32 v[2:3], v6
	v_cmp_gt_i32_e32 vcc_lo, s2, v6
	s_load_b64 s[2:3], s[0:1], 0x18
	s_delay_alu instid0(VALU_DEP_2) | instskip(SKIP_1) | instid1(VALU_DEP_1)
	v_add_f64_e64 v[2:3], v[4:5], -v[2:3]
	v_add_co_ci_u32_e64 v4, null, 0, v6, vcc_lo
	v_dual_ashrrev_i32 v7, 31, v6 :: v_dual_ashrrev_i32 v5, 31, v4
	s_delay_alu instid0(VALU_DEP_1) | instskip(SKIP_1) | instid1(VALU_DEP_3)
	v_mul_u64_e32 v[10:11], s[12:13], v[6:7]
	v_lshl_add_u64 v[6:7], v[8:9], 3, s[14:15]
	v_mul_u64_e32 v[12:13], s[12:13], v[4:5]
	s_lshl_b64 s[12:13], s[18:19], 3
	v_add_f64_e64 v[4:5], -v[2:3], 1.0
	s_wait_kmcnt 0x0
	s_delay_alu instid0(VALU_DEP_4) | instskip(NEXT) | instid1(VALU_DEP_3)
	v_lshl_add_u64 v[8:9], v[10:11], 3, s[2:3]
	v_lshl_add_u64 v[10:11], v[12:13], 3, s[2:3]
	s_lshl_b64 s[2:3], s[8:9], 3
	s_lshl_b64 s[8:9], s[10:11], 3
	;; [unrolled: 1-line block ×3, first 2 shown]
	s_branch .LBB4_9
.LBB4_8:                                ;   in Loop: Header=BB4_9 Depth=1
	v_add_nc_u64_e32 v[8:9], s[2:3], v[8:9]
	v_add_nc_u64_e32 v[10:11], s[2:3], v[10:11]
	;; [unrolled: 1-line block ×3, first 2 shown]
	s_add_co_i32 s5, s5, 1
	s_delay_alu instid0(SALU_CYCLE_1)
	s_cmp_eq_u32 s5, s4
	s_cbranch_scc1 .LBB4_12
.LBB4_9:                                ; =>This Loop Header: Depth=1
                                        ;     Child Loop BB4_11 Depth 2
	s_and_not1_b32 vcc_lo, exec_lo, s7
	s_cbranch_vccnz .LBB4_8
; %bb.10:                               ;   in Loop: Header=BB4_9 Depth=1
	s_delay_alu instid0(VALU_DEP_1)
	v_mov_b64_e32 v[12:13], v[6:7]
	s_mov_b64 s[14:15], 0
	s_mov_b32 s16, s6
.LBB4_11:                               ;   Parent Loop BB4_9 Depth=1
                                        ; =>  This Inner Loop Header: Depth=2
	global_load_b64 v[14:15], v[12:13], off
	v_add_nc_u64_e32 v[18:19], s[14:15], v[8:9]
	v_add_nc_u64_e32 v[20:21], s[14:15], v[10:11]
	s_wait_xcnt 0x0
	v_add_nc_u64_e32 v[12:13], s[12:13], v[12:13]
	s_add_co_i32 s16, s16, -1
	s_add_nc_u64 s[14:15], s[14:15], s[8:9]
	s_cmp_eq_u32 s16, 0
	s_wait_loadcnt 0x0
	v_mul_f64_e32 v[16:17], v[4:5], v[14:15]
	v_mul_f64_e32 v[14:15], v[2:3], v[14:15]
	global_atomic_add_f64 v[18:19], v[16:17], off scope:SCOPE_DEV
	s_wait_xcnt 0x0
	global_atomic_add_f64 v[20:21], v[14:15], off scope:SCOPE_DEV
	s_cbranch_scc0 .LBB4_11
	s_branch .LBB4_8
.LBB4_12:
	s_mov_b32 s3, 0
.LBB4_13:
	s_delay_alu instid0(SALU_CYCLE_1)
	s_and_b32 vcc_lo, exec_lo, s3
	s_cbranch_vccz .LBB4_19
; %bb.14:
	s_cmp_lt_i32 s4, 1
	s_cbranch_scc1 .LBB4_19
; %bb.15:
	s_clause 0x1
	s_load_b64 s[2:3], s[0:1], 0x80
	s_load_b256 s[8:15], s[0:1], 0x38
	v_ashrrev_i32_e32 v1, 31, v0
	s_load_b128 s[16:19], s[0:1], 0x70
	s_cmp_gt_i32 s6, 0
	s_mov_b32 s5, 0
	s_cselect_b32 s7, -1, 0
	s_wait_kmcnt 0x0
	v_mul_u64_e32 v[2:3], s[2:3], v[0:1]
	v_mul_u64_e32 v[4:5], s[12:13], v[0:1]
	s_load_b64 s[2:3], s[0:1], 0x18
	s_wait_xcnt 0x0
	s_lshl_b64 s[0:1], s[8:9], 3
	s_lshl_b64 s[8:9], s[16:17], 3
	s_delay_alu instid0(VALU_DEP_2) | instskip(SKIP_1) | instid1(VALU_DEP_2)
	v_lshl_add_u64 v[0:1], v[2:3], 3, s[14:15]
	s_wait_kmcnt 0x0
	v_lshl_add_u64 v[2:3], v[4:5], 3, s[2:3]
	s_lshl_b64 s[2:3], s[10:11], 3
	s_lshl_b64 s[10:11], s[18:19], 3
	s_branch .LBB4_17
.LBB4_16:                               ;   in Loop: Header=BB4_17 Depth=1
	v_add_nc_u64_e32 v[2:3], s[0:1], v[2:3]
	v_add_nc_u64_e32 v[0:1], s[8:9], v[0:1]
	s_add_co_i32 s5, s5, 1
	s_delay_alu instid0(SALU_CYCLE_1)
	s_cmp_eq_u32 s5, s4
	s_cbranch_scc1 .LBB4_19
.LBB4_17:                               ; =>This Loop Header: Depth=1
                                        ;     Child Loop BB4_18 Depth 2
	s_delay_alu instid0(VALU_DEP_1) | instskip(NEXT) | instid1(VALU_DEP_2)
	v_mov_b64_e32 v[4:5], v[0:1]
	v_mov_b64_e32 v[6:7], v[2:3]
	s_and_not1_b32 vcc_lo, exec_lo, s7
	s_mov_b32 s12, s6
	s_cbranch_vccnz .LBB4_16
.LBB4_18:                               ;   Parent Loop BB4_17 Depth=1
                                        ; =>  This Inner Loop Header: Depth=2
	global_load_b64 v[8:9], v[4:5], off
	s_wait_xcnt 0x0
	v_add_nc_u64_e32 v[4:5], s[10:11], v[4:5]
	s_add_co_i32 s12, s12, -1
	s_delay_alu instid0(SALU_CYCLE_1)
	s_cmp_eq_u32 s12, 0
	s_wait_loadcnt 0x0
	global_store_b64 v[6:7], v[8:9], off
	s_wait_xcnt 0x0
	v_add_nc_u64_e32 v[6:7], s[2:3], v[6:7]
	s_cbranch_scc0 .LBB4_18
	s_branch .LBB4_16
.LBB4_19:
	s_endpgm
	.section	.rodata,"a",@progbits
	.p2align	6, 0x0
	.amdhsa_kernel _ZN2at6native12_GLOBAL__N_136upsample_linear1d_out_frame_backwardIddEEviT0_bN5torch10headeronly6detail27GenericPackedTensorAccessorINS6_14TensorAccessorIN3c108ArrayRefIlEET_Lm2ENS5_16DefaultPtrTraitsElEENS_6detail16IndexBoundsCheckILm3ElEESC_Lm3ESD_lEENS7_INS8_ISB_KSC_Lm2ESD_lEESH_SJ_Lm3ESD_lEE
		.amdhsa_group_segment_fixed_size 0
		.amdhsa_private_segment_fixed_size 0
		.amdhsa_kernarg_size 392
		.amdhsa_user_sgpr_count 2
		.amdhsa_user_sgpr_dispatch_ptr 0
		.amdhsa_user_sgpr_queue_ptr 0
		.amdhsa_user_sgpr_kernarg_segment_ptr 1
		.amdhsa_user_sgpr_dispatch_id 0
		.amdhsa_user_sgpr_kernarg_preload_length 0
		.amdhsa_user_sgpr_kernarg_preload_offset 0
		.amdhsa_user_sgpr_private_segment_size 0
		.amdhsa_wavefront_size32 1
		.amdhsa_uses_dynamic_stack 0
		.amdhsa_enable_private_segment 0
		.amdhsa_system_sgpr_workgroup_id_x 1
		.amdhsa_system_sgpr_workgroup_id_y 0
		.amdhsa_system_sgpr_workgroup_id_z 0
		.amdhsa_system_sgpr_workgroup_info 0
		.amdhsa_system_vgpr_workitem_id 0
		.amdhsa_next_free_vgpr 22
		.amdhsa_next_free_sgpr 22
		.amdhsa_named_barrier_count 0
		.amdhsa_reserve_vcc 1
		.amdhsa_float_round_mode_32 0
		.amdhsa_float_round_mode_16_64 0
		.amdhsa_float_denorm_mode_32 3
		.amdhsa_float_denorm_mode_16_64 3
		.amdhsa_fp16_overflow 0
		.amdhsa_memory_ordered 1
		.amdhsa_forward_progress 1
		.amdhsa_inst_pref_size 8
		.amdhsa_round_robin_scheduling 0
		.amdhsa_exception_fp_ieee_invalid_op 0
		.amdhsa_exception_fp_denorm_src 0
		.amdhsa_exception_fp_ieee_div_zero 0
		.amdhsa_exception_fp_ieee_overflow 0
		.amdhsa_exception_fp_ieee_underflow 0
		.amdhsa_exception_fp_ieee_inexact 0
		.amdhsa_exception_int_div_zero 0
	.end_amdhsa_kernel
	.section	.text._ZN2at6native12_GLOBAL__N_136upsample_linear1d_out_frame_backwardIddEEviT0_bN5torch10headeronly6detail27GenericPackedTensorAccessorINS6_14TensorAccessorIN3c108ArrayRefIlEET_Lm2ENS5_16DefaultPtrTraitsElEENS_6detail16IndexBoundsCheckILm3ElEESC_Lm3ESD_lEENS7_INS8_ISB_KSC_Lm2ESD_lEESH_SJ_Lm3ESD_lEE,"axG",@progbits,_ZN2at6native12_GLOBAL__N_136upsample_linear1d_out_frame_backwardIddEEviT0_bN5torch10headeronly6detail27GenericPackedTensorAccessorINS6_14TensorAccessorIN3c108ArrayRefIlEET_Lm2ENS5_16DefaultPtrTraitsElEENS_6detail16IndexBoundsCheckILm3ElEESC_Lm3ESD_lEENS7_INS8_ISB_KSC_Lm2ESD_lEESH_SJ_Lm3ESD_lEE,comdat
.Lfunc_end4:
	.size	_ZN2at6native12_GLOBAL__N_136upsample_linear1d_out_frame_backwardIddEEviT0_bN5torch10headeronly6detail27GenericPackedTensorAccessorINS6_14TensorAccessorIN3c108ArrayRefIlEET_Lm2ENS5_16DefaultPtrTraitsElEENS_6detail16IndexBoundsCheckILm3ElEESC_Lm3ESD_lEENS7_INS8_ISB_KSC_Lm2ESD_lEESH_SJ_Lm3ESD_lEE, .Lfunc_end4-_ZN2at6native12_GLOBAL__N_136upsample_linear1d_out_frame_backwardIddEEviT0_bN5torch10headeronly6detail27GenericPackedTensorAccessorINS6_14TensorAccessorIN3c108ArrayRefIlEET_Lm2ENS5_16DefaultPtrTraitsElEENS_6detail16IndexBoundsCheckILm3ElEESC_Lm3ESD_lEENS7_INS8_ISB_KSC_Lm2ESD_lEESH_SJ_Lm3ESD_lEE
                                        ; -- End function
	.set _ZN2at6native12_GLOBAL__N_136upsample_linear1d_out_frame_backwardIddEEviT0_bN5torch10headeronly6detail27GenericPackedTensorAccessorINS6_14TensorAccessorIN3c108ArrayRefIlEET_Lm2ENS5_16DefaultPtrTraitsElEENS_6detail16IndexBoundsCheckILm3ElEESC_Lm3ESD_lEENS7_INS8_ISB_KSC_Lm2ESD_lEESH_SJ_Lm3ESD_lEE.num_vgpr, 22
	.set _ZN2at6native12_GLOBAL__N_136upsample_linear1d_out_frame_backwardIddEEviT0_bN5torch10headeronly6detail27GenericPackedTensorAccessorINS6_14TensorAccessorIN3c108ArrayRefIlEET_Lm2ENS5_16DefaultPtrTraitsElEENS_6detail16IndexBoundsCheckILm3ElEESC_Lm3ESD_lEENS7_INS8_ISB_KSC_Lm2ESD_lEESH_SJ_Lm3ESD_lEE.num_agpr, 0
	.set _ZN2at6native12_GLOBAL__N_136upsample_linear1d_out_frame_backwardIddEEviT0_bN5torch10headeronly6detail27GenericPackedTensorAccessorINS6_14TensorAccessorIN3c108ArrayRefIlEET_Lm2ENS5_16DefaultPtrTraitsElEENS_6detail16IndexBoundsCheckILm3ElEESC_Lm3ESD_lEENS7_INS8_ISB_KSC_Lm2ESD_lEESH_SJ_Lm3ESD_lEE.numbered_sgpr, 22
	.set _ZN2at6native12_GLOBAL__N_136upsample_linear1d_out_frame_backwardIddEEviT0_bN5torch10headeronly6detail27GenericPackedTensorAccessorINS6_14TensorAccessorIN3c108ArrayRefIlEET_Lm2ENS5_16DefaultPtrTraitsElEENS_6detail16IndexBoundsCheckILm3ElEESC_Lm3ESD_lEENS7_INS8_ISB_KSC_Lm2ESD_lEESH_SJ_Lm3ESD_lEE.num_named_barrier, 0
	.set _ZN2at6native12_GLOBAL__N_136upsample_linear1d_out_frame_backwardIddEEviT0_bN5torch10headeronly6detail27GenericPackedTensorAccessorINS6_14TensorAccessorIN3c108ArrayRefIlEET_Lm2ENS5_16DefaultPtrTraitsElEENS_6detail16IndexBoundsCheckILm3ElEESC_Lm3ESD_lEENS7_INS8_ISB_KSC_Lm2ESD_lEESH_SJ_Lm3ESD_lEE.private_seg_size, 0
	.set _ZN2at6native12_GLOBAL__N_136upsample_linear1d_out_frame_backwardIddEEviT0_bN5torch10headeronly6detail27GenericPackedTensorAccessorINS6_14TensorAccessorIN3c108ArrayRefIlEET_Lm2ENS5_16DefaultPtrTraitsElEENS_6detail16IndexBoundsCheckILm3ElEESC_Lm3ESD_lEENS7_INS8_ISB_KSC_Lm2ESD_lEESH_SJ_Lm3ESD_lEE.uses_vcc, 1
	.set _ZN2at6native12_GLOBAL__N_136upsample_linear1d_out_frame_backwardIddEEviT0_bN5torch10headeronly6detail27GenericPackedTensorAccessorINS6_14TensorAccessorIN3c108ArrayRefIlEET_Lm2ENS5_16DefaultPtrTraitsElEENS_6detail16IndexBoundsCheckILm3ElEESC_Lm3ESD_lEENS7_INS8_ISB_KSC_Lm2ESD_lEESH_SJ_Lm3ESD_lEE.uses_flat_scratch, 0
	.set _ZN2at6native12_GLOBAL__N_136upsample_linear1d_out_frame_backwardIddEEviT0_bN5torch10headeronly6detail27GenericPackedTensorAccessorINS6_14TensorAccessorIN3c108ArrayRefIlEET_Lm2ENS5_16DefaultPtrTraitsElEENS_6detail16IndexBoundsCheckILm3ElEESC_Lm3ESD_lEENS7_INS8_ISB_KSC_Lm2ESD_lEESH_SJ_Lm3ESD_lEE.has_dyn_sized_stack, 0
	.set _ZN2at6native12_GLOBAL__N_136upsample_linear1d_out_frame_backwardIddEEviT0_bN5torch10headeronly6detail27GenericPackedTensorAccessorINS6_14TensorAccessorIN3c108ArrayRefIlEET_Lm2ENS5_16DefaultPtrTraitsElEENS_6detail16IndexBoundsCheckILm3ElEESC_Lm3ESD_lEENS7_INS8_ISB_KSC_Lm2ESD_lEESH_SJ_Lm3ESD_lEE.has_recursion, 0
	.set _ZN2at6native12_GLOBAL__N_136upsample_linear1d_out_frame_backwardIddEEviT0_bN5torch10headeronly6detail27GenericPackedTensorAccessorINS6_14TensorAccessorIN3c108ArrayRefIlEET_Lm2ENS5_16DefaultPtrTraitsElEENS_6detail16IndexBoundsCheckILm3ElEESC_Lm3ESD_lEENS7_INS8_ISB_KSC_Lm2ESD_lEESH_SJ_Lm3ESD_lEE.has_indirect_call, 0
	.section	.AMDGPU.csdata,"",@progbits
; Kernel info:
; codeLenInByte = 972
; TotalNumSgprs: 24
; NumVgprs: 22
; ScratchSize: 0
; MemoryBound: 0
; FloatMode: 240
; IeeeMode: 1
; LDSByteSize: 0 bytes/workgroup (compile time only)
; SGPRBlocks: 0
; VGPRBlocks: 1
; NumSGPRsForWavesPerEU: 24
; NumVGPRsForWavesPerEU: 22
; NamedBarCnt: 0
; Occupancy: 16
; WaveLimiterHint : 1
; COMPUTE_PGM_RSRC2:SCRATCH_EN: 0
; COMPUTE_PGM_RSRC2:USER_SGPR: 2
; COMPUTE_PGM_RSRC2:TRAP_HANDLER: 0
; COMPUTE_PGM_RSRC2:TGID_X_EN: 1
; COMPUTE_PGM_RSRC2:TGID_Y_EN: 0
; COMPUTE_PGM_RSRC2:TGID_Z_EN: 0
; COMPUTE_PGM_RSRC2:TIDIG_COMP_CNT: 0
	.section	.text._ZN2at6native12_GLOBAL__N_136upsample_linear1d_out_frame_backwardIffEEviT0_bN5torch10headeronly6detail27GenericPackedTensorAccessorINS6_14TensorAccessorIN3c108ArrayRefIlEET_Lm2ENS5_16DefaultPtrTraitsElEENS_6detail16IndexBoundsCheckILm3ElEESC_Lm3ESD_lEENS7_INS8_ISB_KSC_Lm2ESD_lEESH_SJ_Lm3ESD_lEE,"axG",@progbits,_ZN2at6native12_GLOBAL__N_136upsample_linear1d_out_frame_backwardIffEEviT0_bN5torch10headeronly6detail27GenericPackedTensorAccessorINS6_14TensorAccessorIN3c108ArrayRefIlEET_Lm2ENS5_16DefaultPtrTraitsElEENS_6detail16IndexBoundsCheckILm3ElEESC_Lm3ESD_lEENS7_INS8_ISB_KSC_Lm2ESD_lEESH_SJ_Lm3ESD_lEE,comdat
	.globl	_ZN2at6native12_GLOBAL__N_136upsample_linear1d_out_frame_backwardIffEEviT0_bN5torch10headeronly6detail27GenericPackedTensorAccessorINS6_14TensorAccessorIN3c108ArrayRefIlEET_Lm2ENS5_16DefaultPtrTraitsElEENS_6detail16IndexBoundsCheckILm3ElEESC_Lm3ESD_lEENS7_INS8_ISB_KSC_Lm2ESD_lEESH_SJ_Lm3ESD_lEE ; -- Begin function _ZN2at6native12_GLOBAL__N_136upsample_linear1d_out_frame_backwardIffEEviT0_bN5torch10headeronly6detail27GenericPackedTensorAccessorINS6_14TensorAccessorIN3c108ArrayRefIlEET_Lm2ENS5_16DefaultPtrTraitsElEENS_6detail16IndexBoundsCheckILm3ElEESC_Lm3ESD_lEENS7_INS8_ISB_KSC_Lm2ESD_lEESH_SJ_Lm3ESD_lEE
	.p2align	8
	.type	_ZN2at6native12_GLOBAL__N_136upsample_linear1d_out_frame_backwardIffEEviT0_bN5torch10headeronly6detail27GenericPackedTensorAccessorINS6_14TensorAccessorIN3c108ArrayRefIlEET_Lm2ENS5_16DefaultPtrTraitsElEENS_6detail16IndexBoundsCheckILm3ElEESC_Lm3ESD_lEENS7_INS8_ISB_KSC_Lm2ESD_lEESH_SJ_Lm3ESD_lEE,@function
_ZN2at6native12_GLOBAL__N_136upsample_linear1d_out_frame_backwardIffEEviT0_bN5torch10headeronly6detail27GenericPackedTensorAccessorINS6_14TensorAccessorIN3c108ArrayRefIlEET_Lm2ENS5_16DefaultPtrTraitsElEENS_6detail16IndexBoundsCheckILm3ElEESC_Lm3ESD_lEENS7_INS8_ISB_KSC_Lm2ESD_lEESH_SJ_Lm3ESD_lEE: ; @_ZN2at6native12_GLOBAL__N_136upsample_linear1d_out_frame_backwardIffEEviT0_bN5torch10headeronly6detail27GenericPackedTensorAccessorINS6_14TensorAccessorIN3c108ArrayRefIlEET_Lm2ENS5_16DefaultPtrTraitsElEENS_6detail16IndexBoundsCheckILm3ElEESC_Lm3ESD_lEENS7_INS8_ISB_KSC_Lm2ESD_lEESH_SJ_Lm3ESD_lEE
; %bb.0:
	s_clause 0x1
	s_load_b32 s2, s[0:1], 0x8c
	s_load_b96 s[4:6], s[0:1], 0x0
	s_bfe_u32 s3, ttmp6, 0x4000c
	s_and_b32 s7, ttmp6, 15
	s_add_co_i32 s3, s3, 1
	s_getreg_b32 s8, hwreg(HW_REG_IB_STS2, 6, 4)
	s_mul_i32 s3, ttmp9, s3
	s_delay_alu instid0(SALU_CYCLE_1) | instskip(SKIP_4) | instid1(SALU_CYCLE_1)
	s_add_co_i32 s7, s7, s3
	s_wait_kmcnt 0x0
	s_and_b32 s2, s2, 0xffff
	s_cmp_eq_u32 s8, 0
	s_cselect_b32 s3, ttmp9, s7
	v_mad_u32 v0, s3, s2, v0
	s_mov_b32 s2, exec_lo
	s_delay_alu instid0(VALU_DEP_1)
	v_cmpx_gt_i32_e64 s4, v0
	s_cbranch_execz .LBB5_19
; %bb.1:
	s_load_b32 s3, s[0:1], 0x60
	s_wait_kmcnt 0x0
	s_abs_i32 s4, s3
	s_delay_alu instid0(SALU_CYCLE_1) | instskip(SKIP_1) | instid1(SALU_CYCLE_2)
	s_cvt_f32_u32 s2, s4
	s_sub_co_i32 s7, 0, s4
	v_rcp_iflag_f32_e32 v1, s2
	v_nop
	s_delay_alu instid0(TRANS32_DEP_1) | instskip(SKIP_2) | instid1(VALU_DEP_1)
	v_readfirstlane_b32 s2, v1
	v_sub_nc_u32_e32 v1, 0, v0
	s_mul_f32 s2, s2, 0x4f7ffffe
	v_dual_ashrrev_i32 v0, 31, v0 :: v_dual_max_i32 v1, v0, v1
	s_delay_alu instid0(SALU_CYCLE_2) | instskip(NEXT) | instid1(SALU_CYCLE_3)
	s_cvt_u32_f32 s2, s2
	s_mul_i32 s7, s7, s2
	s_delay_alu instid0(SALU_CYCLE_1) | instskip(NEXT) | instid1(SALU_CYCLE_1)
	s_mul_hi_u32 s7, s2, s7
	s_add_co_i32 s2, s2, s7
	s_delay_alu instid0(SALU_CYCLE_1) | instskip(SKIP_3) | instid1(VALU_DEP_1)
	v_mul_hi_u32 v2, v1, s2
	s_clause 0x1
	s_load_b32 s2, s[0:1], 0x28
	s_load_b128 s[12:15], s[0:1], 0x18
	v_mul_lo_u32 v2, v2, s4
	s_wait_kmcnt 0x0
	s_cmp_lg_u32 s2, s3
	s_mov_b32 s3, -1
	s_delay_alu instid0(VALU_DEP_1) | instskip(NEXT) | instid1(VALU_DEP_1)
	v_sub_nc_u32_e32 v1, v1, v2
	v_subrev_nc_u32_e32 v2, s4, v1
	v_cmp_le_u32_e32 vcc_lo, s4, v1
	s_delay_alu instid0(VALU_DEP_2) | instskip(NEXT) | instid1(VALU_DEP_1)
	v_cndmask_b32_e32 v1, v1, v2, vcc_lo
	v_subrev_nc_u32_e32 v2, s4, v1
	v_cmp_le_u32_e32 vcc_lo, s4, v1
	s_delay_alu instid0(VALU_DEP_2) | instskip(NEXT) | instid1(VALU_DEP_1)
	v_cndmask_b32_e32 v1, v1, v2, vcc_lo
	v_xor_b32_e32 v1, v1, v0
	s_delay_alu instid0(VALU_DEP_1)
	v_sub_nc_u32_e32 v0, v1, v0
	s_cbranch_scc0 .LBB5_13
; %bb.2:
	s_delay_alu instid0(VALU_DEP_1)
	v_cvt_f32_i32_e32 v1, v0
	s_bitcmp0_b32 s6, 0
	s_mov_b32 s3, 0
	s_cbranch_scc0 .LBB5_4
; %bb.3:
	s_delay_alu instid0(VALU_DEP_1) | instskip(NEXT) | instid1(VALU_DEP_1)
	v_add_f32_e32 v2, 0.5, v1
	v_fma_f32 v2, s5, v2, -0.5
	s_delay_alu instid0(VALU_DEP_1)
	v_cmp_ngt_f32_e32 vcc_lo, 0, v2
	v_cndmask_b32_e32 v2, 0, v2, vcc_lo
	s_and_not1_b32 vcc_lo, exec_lo, s3
	s_cbranch_vccz .LBB5_5
	s_branch .LBB5_6
.LBB5_4:
                                        ; implicit-def: $vgpr2
.LBB5_5:
	s_delay_alu instid0(VALU_DEP_1)
	v_mul_f32_e32 v2, s5, v1
.LBB5_6:
	s_cmp_lt_i32 s12, 1
	s_cbranch_scc1 .LBB5_12
; %bb.7:
	s_clause 0x1
	s_load_b64 s[20:21], s[0:1], 0x78
	s_load_b256 s[4:11], s[0:1], 0x30
	v_cvt_i32_f32_e32 v4, v2
	s_add_co_i32 s2, s2, -1
	s_load_b128 s[16:19], s[0:1], 0x68
	s_cmp_gt_i32 s14, 0
	s_mov_b32 s13, 0
	v_cmp_gt_i32_e32 vcc_lo, s2, v4
	s_cselect_b32 s15, -1, 0
	v_add_co_ci_u32_e64 v6, null, 0, v4, vcc_lo
	s_delay_alu instid0(VALU_DEP_1) | instskip(SKIP_1) | instid1(VALU_DEP_1)
	v_dual_ashrrev_i32 v1, 31, v0 :: v_dual_ashrrev_i32 v7, 31, v6
	s_wait_kmcnt 0x0
	v_mul_u64_e32 v[8:9], s[20:21], v[0:1]
	v_cvt_f32_i32_e32 v1, v4
	v_ashrrev_i32_e32 v5, 31, v4
	v_mul_u64_e32 v[6:7], s[8:9], v[6:7]
	s_lshl_b64 s[2:3], s[4:5], 2
	s_lshl_b64 s[4:5], s[6:7], 2
	v_sub_f32_e32 v1, v2, v1
	v_mul_u64_e32 v[12:13], s[8:9], v[4:5]
	s_load_b64 s[8:9], s[0:1], 0x10
	s_lshl_b64 s[6:7], s[16:17], 2
	s_delay_alu instid0(VALU_DEP_2) | instskip(SKIP_3) | instid1(VALU_DEP_4)
	v_sub_f32_e32 v10, 1.0, v1
	v_lshl_add_u64 v[2:3], v[8:9], 2, s[10:11]
	s_wait_kmcnt 0x0
	v_lshl_add_u64 v[6:7], v[6:7], 2, s[8:9]
	v_lshl_add_u64 v[4:5], v[12:13], 2, s[8:9]
	s_lshl_b64 s[8:9], s[18:19], 2
	s_branch .LBB5_9
.LBB5_8:                                ;   in Loop: Header=BB5_9 Depth=1
	v_add_nc_u64_e32 v[4:5], s[2:3], v[4:5]
	v_add_nc_u64_e32 v[6:7], s[2:3], v[6:7]
	;; [unrolled: 1-line block ×3, first 2 shown]
	s_add_co_i32 s13, s13, 1
	s_delay_alu instid0(SALU_CYCLE_1)
	s_cmp_eq_u32 s13, s12
	s_cbranch_scc1 .LBB5_12
.LBB5_9:                                ; =>This Loop Header: Depth=1
                                        ;     Child Loop BB5_11 Depth 2
	s_and_not1_b32 vcc_lo, exec_lo, s15
	s_cbranch_vccnz .LBB5_8
; %bb.10:                               ;   in Loop: Header=BB5_9 Depth=1
	s_delay_alu instid0(VALU_DEP_1)
	v_mov_b64_e32 v[8:9], v[2:3]
	s_mov_b64 s[10:11], 0
	s_mov_b32 s16, s14
.LBB5_11:                               ;   Parent Loop BB5_9 Depth=1
                                        ; =>  This Inner Loop Header: Depth=2
	global_load_b32 v11, v[8:9], off
	v_add_nc_u64_e32 v[12:13], s[10:11], v[4:5]
	v_add_nc_u64_e32 v[14:15], s[10:11], v[6:7]
	s_wait_xcnt 0x0
	v_add_nc_u64_e32 v[8:9], s[8:9], v[8:9]
	s_add_co_i32 s16, s16, -1
	s_add_nc_u64 s[10:11], s[10:11], s[4:5]
	s_cmp_eq_u32 s16, 0
	s_wait_loadcnt 0x0
	v_dual_mul_f32 v16, v10, v11 :: v_dual_mul_f32 v11, v1, v11
	global_atomic_add_f32 v[12:13], v16, off scope:SCOPE_DEV
	s_wait_xcnt 0x0
	global_atomic_add_f32 v[14:15], v11, off scope:SCOPE_DEV
	s_cbranch_scc0 .LBB5_11
	s_branch .LBB5_8
.LBB5_12:
	s_mov_b32 s3, 0
.LBB5_13:
	s_delay_alu instid0(SALU_CYCLE_1)
	s_and_b32 vcc_lo, exec_lo, s3
	s_cbranch_vccz .LBB5_19
; %bb.14:
	s_cmp_lt_i32 s12, 1
	s_cbranch_scc1 .LBB5_19
; %bb.15:
	s_clause 0x1
	s_load_b64 s[2:3], s[0:1], 0x78
	s_load_b256 s[4:11], s[0:1], 0x30
	v_ashrrev_i32_e32 v1, 31, v0
	s_load_b128 s[16:19], s[0:1], 0x68
	s_cmp_gt_i32 s14, 0
	s_wait_kmcnt 0x0
	s_delay_alu instid0(VALU_DEP_1)
	v_mul_u64_e32 v[2:3], s[2:3], v[0:1]
	v_mul_u64_e32 v[4:5], s[8:9], v[0:1]
	s_load_b64 s[2:3], s[0:1], 0x10
	s_mov_b32 s8, 0
	s_cselect_b32 s9, -1, 0
	s_wait_xcnt 0x0
	s_lshl_b64 s[0:1], s[4:5], 2
	s_lshl_b64 s[4:5], s[16:17], 2
	s_delay_alu instid0(VALU_DEP_2) | instskip(SKIP_1) | instid1(VALU_DEP_2)
	v_lshl_add_u64 v[0:1], v[2:3], 2, s[10:11]
	s_wait_kmcnt 0x0
	v_lshl_add_u64 v[2:3], v[4:5], 2, s[2:3]
	s_lshl_b64 s[2:3], s[6:7], 2
	s_lshl_b64 s[6:7], s[18:19], 2
	s_branch .LBB5_17
.LBB5_16:                               ;   in Loop: Header=BB5_17 Depth=1
	v_add_nc_u64_e32 v[2:3], s[0:1], v[2:3]
	v_add_nc_u64_e32 v[0:1], s[4:5], v[0:1]
	s_add_co_i32 s8, s8, 1
	s_delay_alu instid0(SALU_CYCLE_1)
	s_cmp_eq_u32 s8, s12
	s_cbranch_scc1 .LBB5_19
.LBB5_17:                               ; =>This Loop Header: Depth=1
                                        ;     Child Loop BB5_18 Depth 2
	s_delay_alu instid0(VALU_DEP_1) | instskip(NEXT) | instid1(VALU_DEP_2)
	v_mov_b64_e32 v[4:5], v[0:1]
	v_mov_b64_e32 v[6:7], v[2:3]
	s_and_not1_b32 vcc_lo, exec_lo, s9
	s_mov_b32 s10, s14
	s_cbranch_vccnz .LBB5_16
.LBB5_18:                               ;   Parent Loop BB5_17 Depth=1
                                        ; =>  This Inner Loop Header: Depth=2
	global_load_b32 v8, v[4:5], off
	s_wait_xcnt 0x0
	v_add_nc_u64_e32 v[4:5], s[6:7], v[4:5]
	s_add_co_i32 s10, s10, -1
	s_delay_alu instid0(SALU_CYCLE_1)
	s_cmp_eq_u32 s10, 0
	s_wait_loadcnt 0x0
	global_store_b32 v[6:7], v8, off
	s_wait_xcnt 0x0
	v_add_nc_u64_e32 v[6:7], s[2:3], v[6:7]
	s_cbranch_scc0 .LBB5_18
	s_branch .LBB5_16
.LBB5_19:
	s_endpgm
	.section	.rodata,"a",@progbits
	.p2align	6, 0x0
	.amdhsa_kernel _ZN2at6native12_GLOBAL__N_136upsample_linear1d_out_frame_backwardIffEEviT0_bN5torch10headeronly6detail27GenericPackedTensorAccessorINS6_14TensorAccessorIN3c108ArrayRefIlEET_Lm2ENS5_16DefaultPtrTraitsElEENS_6detail16IndexBoundsCheckILm3ElEESC_Lm3ESD_lEENS7_INS8_ISB_KSC_Lm2ESD_lEESH_SJ_Lm3ESD_lEE
		.amdhsa_group_segment_fixed_size 0
		.amdhsa_private_segment_fixed_size 0
		.amdhsa_kernarg_size 384
		.amdhsa_user_sgpr_count 2
		.amdhsa_user_sgpr_dispatch_ptr 0
		.amdhsa_user_sgpr_queue_ptr 0
		.amdhsa_user_sgpr_kernarg_segment_ptr 1
		.amdhsa_user_sgpr_dispatch_id 0
		.amdhsa_user_sgpr_kernarg_preload_length 0
		.amdhsa_user_sgpr_kernarg_preload_offset 0
		.amdhsa_user_sgpr_private_segment_size 0
		.amdhsa_wavefront_size32 1
		.amdhsa_uses_dynamic_stack 0
		.amdhsa_enable_private_segment 0
		.amdhsa_system_sgpr_workgroup_id_x 1
		.amdhsa_system_sgpr_workgroup_id_y 0
		.amdhsa_system_sgpr_workgroup_id_z 0
		.amdhsa_system_sgpr_workgroup_info 0
		.amdhsa_system_vgpr_workitem_id 0
		.amdhsa_next_free_vgpr 17
		.amdhsa_next_free_sgpr 22
		.amdhsa_named_barrier_count 0
		.amdhsa_reserve_vcc 1
		.amdhsa_float_round_mode_32 0
		.amdhsa_float_round_mode_16_64 0
		.amdhsa_float_denorm_mode_32 3
		.amdhsa_float_denorm_mode_16_64 3
		.amdhsa_fp16_overflow 0
		.amdhsa_memory_ordered 1
		.amdhsa_forward_progress 1
		.amdhsa_inst_pref_size 8
		.amdhsa_round_robin_scheduling 0
		.amdhsa_exception_fp_ieee_invalid_op 0
		.amdhsa_exception_fp_denorm_src 0
		.amdhsa_exception_fp_ieee_div_zero 0
		.amdhsa_exception_fp_ieee_overflow 0
		.amdhsa_exception_fp_ieee_underflow 0
		.amdhsa_exception_fp_ieee_inexact 0
		.amdhsa_exception_int_div_zero 0
	.end_amdhsa_kernel
	.section	.text._ZN2at6native12_GLOBAL__N_136upsample_linear1d_out_frame_backwardIffEEviT0_bN5torch10headeronly6detail27GenericPackedTensorAccessorINS6_14TensorAccessorIN3c108ArrayRefIlEET_Lm2ENS5_16DefaultPtrTraitsElEENS_6detail16IndexBoundsCheckILm3ElEESC_Lm3ESD_lEENS7_INS8_ISB_KSC_Lm2ESD_lEESH_SJ_Lm3ESD_lEE,"axG",@progbits,_ZN2at6native12_GLOBAL__N_136upsample_linear1d_out_frame_backwardIffEEviT0_bN5torch10headeronly6detail27GenericPackedTensorAccessorINS6_14TensorAccessorIN3c108ArrayRefIlEET_Lm2ENS5_16DefaultPtrTraitsElEENS_6detail16IndexBoundsCheckILm3ElEESC_Lm3ESD_lEENS7_INS8_ISB_KSC_Lm2ESD_lEESH_SJ_Lm3ESD_lEE,comdat
.Lfunc_end5:
	.size	_ZN2at6native12_GLOBAL__N_136upsample_linear1d_out_frame_backwardIffEEviT0_bN5torch10headeronly6detail27GenericPackedTensorAccessorINS6_14TensorAccessorIN3c108ArrayRefIlEET_Lm2ENS5_16DefaultPtrTraitsElEENS_6detail16IndexBoundsCheckILm3ElEESC_Lm3ESD_lEENS7_INS8_ISB_KSC_Lm2ESD_lEESH_SJ_Lm3ESD_lEE, .Lfunc_end5-_ZN2at6native12_GLOBAL__N_136upsample_linear1d_out_frame_backwardIffEEviT0_bN5torch10headeronly6detail27GenericPackedTensorAccessorINS6_14TensorAccessorIN3c108ArrayRefIlEET_Lm2ENS5_16DefaultPtrTraitsElEENS_6detail16IndexBoundsCheckILm3ElEESC_Lm3ESD_lEENS7_INS8_ISB_KSC_Lm2ESD_lEESH_SJ_Lm3ESD_lEE
                                        ; -- End function
	.set _ZN2at6native12_GLOBAL__N_136upsample_linear1d_out_frame_backwardIffEEviT0_bN5torch10headeronly6detail27GenericPackedTensorAccessorINS6_14TensorAccessorIN3c108ArrayRefIlEET_Lm2ENS5_16DefaultPtrTraitsElEENS_6detail16IndexBoundsCheckILm3ElEESC_Lm3ESD_lEENS7_INS8_ISB_KSC_Lm2ESD_lEESH_SJ_Lm3ESD_lEE.num_vgpr, 17
	.set _ZN2at6native12_GLOBAL__N_136upsample_linear1d_out_frame_backwardIffEEviT0_bN5torch10headeronly6detail27GenericPackedTensorAccessorINS6_14TensorAccessorIN3c108ArrayRefIlEET_Lm2ENS5_16DefaultPtrTraitsElEENS_6detail16IndexBoundsCheckILm3ElEESC_Lm3ESD_lEENS7_INS8_ISB_KSC_Lm2ESD_lEESH_SJ_Lm3ESD_lEE.num_agpr, 0
	.set _ZN2at6native12_GLOBAL__N_136upsample_linear1d_out_frame_backwardIffEEviT0_bN5torch10headeronly6detail27GenericPackedTensorAccessorINS6_14TensorAccessorIN3c108ArrayRefIlEET_Lm2ENS5_16DefaultPtrTraitsElEENS_6detail16IndexBoundsCheckILm3ElEESC_Lm3ESD_lEENS7_INS8_ISB_KSC_Lm2ESD_lEESH_SJ_Lm3ESD_lEE.numbered_sgpr, 22
	.set _ZN2at6native12_GLOBAL__N_136upsample_linear1d_out_frame_backwardIffEEviT0_bN5torch10headeronly6detail27GenericPackedTensorAccessorINS6_14TensorAccessorIN3c108ArrayRefIlEET_Lm2ENS5_16DefaultPtrTraitsElEENS_6detail16IndexBoundsCheckILm3ElEESC_Lm3ESD_lEENS7_INS8_ISB_KSC_Lm2ESD_lEESH_SJ_Lm3ESD_lEE.num_named_barrier, 0
	.set _ZN2at6native12_GLOBAL__N_136upsample_linear1d_out_frame_backwardIffEEviT0_bN5torch10headeronly6detail27GenericPackedTensorAccessorINS6_14TensorAccessorIN3c108ArrayRefIlEET_Lm2ENS5_16DefaultPtrTraitsElEENS_6detail16IndexBoundsCheckILm3ElEESC_Lm3ESD_lEENS7_INS8_ISB_KSC_Lm2ESD_lEESH_SJ_Lm3ESD_lEE.private_seg_size, 0
	.set _ZN2at6native12_GLOBAL__N_136upsample_linear1d_out_frame_backwardIffEEviT0_bN5torch10headeronly6detail27GenericPackedTensorAccessorINS6_14TensorAccessorIN3c108ArrayRefIlEET_Lm2ENS5_16DefaultPtrTraitsElEENS_6detail16IndexBoundsCheckILm3ElEESC_Lm3ESD_lEENS7_INS8_ISB_KSC_Lm2ESD_lEESH_SJ_Lm3ESD_lEE.uses_vcc, 1
	.set _ZN2at6native12_GLOBAL__N_136upsample_linear1d_out_frame_backwardIffEEviT0_bN5torch10headeronly6detail27GenericPackedTensorAccessorINS6_14TensorAccessorIN3c108ArrayRefIlEET_Lm2ENS5_16DefaultPtrTraitsElEENS_6detail16IndexBoundsCheckILm3ElEESC_Lm3ESD_lEENS7_INS8_ISB_KSC_Lm2ESD_lEESH_SJ_Lm3ESD_lEE.uses_flat_scratch, 0
	.set _ZN2at6native12_GLOBAL__N_136upsample_linear1d_out_frame_backwardIffEEviT0_bN5torch10headeronly6detail27GenericPackedTensorAccessorINS6_14TensorAccessorIN3c108ArrayRefIlEET_Lm2ENS5_16DefaultPtrTraitsElEENS_6detail16IndexBoundsCheckILm3ElEESC_Lm3ESD_lEENS7_INS8_ISB_KSC_Lm2ESD_lEESH_SJ_Lm3ESD_lEE.has_dyn_sized_stack, 0
	.set _ZN2at6native12_GLOBAL__N_136upsample_linear1d_out_frame_backwardIffEEviT0_bN5torch10headeronly6detail27GenericPackedTensorAccessorINS6_14TensorAccessorIN3c108ArrayRefIlEET_Lm2ENS5_16DefaultPtrTraitsElEENS_6detail16IndexBoundsCheckILm3ElEESC_Lm3ESD_lEENS7_INS8_ISB_KSC_Lm2ESD_lEESH_SJ_Lm3ESD_lEE.has_recursion, 0
	.set _ZN2at6native12_GLOBAL__N_136upsample_linear1d_out_frame_backwardIffEEviT0_bN5torch10headeronly6detail27GenericPackedTensorAccessorINS6_14TensorAccessorIN3c108ArrayRefIlEET_Lm2ENS5_16DefaultPtrTraitsElEENS_6detail16IndexBoundsCheckILm3ElEESC_Lm3ESD_lEENS7_INS8_ISB_KSC_Lm2ESD_lEESH_SJ_Lm3ESD_lEE.has_indirect_call, 0
	.section	.AMDGPU.csdata,"",@progbits
; Kernel info:
; codeLenInByte = 940
; TotalNumSgprs: 24
; NumVgprs: 17
; ScratchSize: 0
; MemoryBound: 0
; FloatMode: 240
; IeeeMode: 1
; LDSByteSize: 0 bytes/workgroup (compile time only)
; SGPRBlocks: 0
; VGPRBlocks: 1
; NumSGPRsForWavesPerEU: 24
; NumVGPRsForWavesPerEU: 17
; NamedBarCnt: 0
; Occupancy: 16
; WaveLimiterHint : 1
; COMPUTE_PGM_RSRC2:SCRATCH_EN: 0
; COMPUTE_PGM_RSRC2:USER_SGPR: 2
; COMPUTE_PGM_RSRC2:TRAP_HANDLER: 0
; COMPUTE_PGM_RSRC2:TGID_X_EN: 1
; COMPUTE_PGM_RSRC2:TGID_Y_EN: 0
; COMPUTE_PGM_RSRC2:TGID_Z_EN: 0
; COMPUTE_PGM_RSRC2:TIDIG_COMP_CNT: 0
	.section	.text._ZN2at6native12_GLOBAL__N_136upsample_linear1d_out_frame_backwardIN3c104HalfEfEEviT0_bN5torch10headeronly6detail27GenericPackedTensorAccessorINS8_14TensorAccessorINS3_8ArrayRefIlEET_Lm2ENS7_16DefaultPtrTraitsElEENS_6detail16IndexBoundsCheckILm3ElEESD_Lm3ESE_lEENS9_INSA_ISC_KSD_Lm2ESE_lEESI_SK_Lm3ESE_lEE,"axG",@progbits,_ZN2at6native12_GLOBAL__N_136upsample_linear1d_out_frame_backwardIN3c104HalfEfEEviT0_bN5torch10headeronly6detail27GenericPackedTensorAccessorINS8_14TensorAccessorINS3_8ArrayRefIlEET_Lm2ENS7_16DefaultPtrTraitsElEENS_6detail16IndexBoundsCheckILm3ElEESD_Lm3ESE_lEENS9_INSA_ISC_KSD_Lm2ESE_lEESI_SK_Lm3ESE_lEE,comdat
	.globl	_ZN2at6native12_GLOBAL__N_136upsample_linear1d_out_frame_backwardIN3c104HalfEfEEviT0_bN5torch10headeronly6detail27GenericPackedTensorAccessorINS8_14TensorAccessorINS3_8ArrayRefIlEET_Lm2ENS7_16DefaultPtrTraitsElEENS_6detail16IndexBoundsCheckILm3ElEESD_Lm3ESE_lEENS9_INSA_ISC_KSD_Lm2ESE_lEESI_SK_Lm3ESE_lEE ; -- Begin function _ZN2at6native12_GLOBAL__N_136upsample_linear1d_out_frame_backwardIN3c104HalfEfEEviT0_bN5torch10headeronly6detail27GenericPackedTensorAccessorINS8_14TensorAccessorINS3_8ArrayRefIlEET_Lm2ENS7_16DefaultPtrTraitsElEENS_6detail16IndexBoundsCheckILm3ElEESD_Lm3ESE_lEENS9_INSA_ISC_KSD_Lm2ESE_lEESI_SK_Lm3ESE_lEE
	.p2align	8
	.type	_ZN2at6native12_GLOBAL__N_136upsample_linear1d_out_frame_backwardIN3c104HalfEfEEviT0_bN5torch10headeronly6detail27GenericPackedTensorAccessorINS8_14TensorAccessorINS3_8ArrayRefIlEET_Lm2ENS7_16DefaultPtrTraitsElEENS_6detail16IndexBoundsCheckILm3ElEESD_Lm3ESE_lEENS9_INSA_ISC_KSD_Lm2ESE_lEESI_SK_Lm3ESE_lEE,@function
_ZN2at6native12_GLOBAL__N_136upsample_linear1d_out_frame_backwardIN3c104HalfEfEEviT0_bN5torch10headeronly6detail27GenericPackedTensorAccessorINS8_14TensorAccessorINS3_8ArrayRefIlEET_Lm2ENS7_16DefaultPtrTraitsElEENS_6detail16IndexBoundsCheckILm3ElEESD_Lm3ESE_lEENS9_INSA_ISC_KSD_Lm2ESE_lEESI_SK_Lm3ESE_lEE: ; @_ZN2at6native12_GLOBAL__N_136upsample_linear1d_out_frame_backwardIN3c104HalfEfEEviT0_bN5torch10headeronly6detail27GenericPackedTensorAccessorINS8_14TensorAccessorINS3_8ArrayRefIlEET_Lm2ENS7_16DefaultPtrTraitsElEENS_6detail16IndexBoundsCheckILm3ElEESD_Lm3ESE_lEENS9_INSA_ISC_KSD_Lm2ESE_lEESI_SK_Lm3ESE_lEE
; %bb.0:
	s_clause 0x1
	s_load_b32 s2, s[0:1], 0x8c
	s_load_b96 s[4:6], s[0:1], 0x0
	s_bfe_u32 s3, ttmp6, 0x4000c
	s_and_b32 s7, ttmp6, 15
	s_add_co_i32 s3, s3, 1
	s_getreg_b32 s8, hwreg(HW_REG_IB_STS2, 6, 4)
	s_mul_i32 s3, ttmp9, s3
	s_delay_alu instid0(SALU_CYCLE_1) | instskip(SKIP_4) | instid1(SALU_CYCLE_1)
	s_add_co_i32 s7, s7, s3
	s_wait_kmcnt 0x0
	s_and_b32 s2, s2, 0xffff
	s_cmp_eq_u32 s8, 0
	s_cselect_b32 s3, ttmp9, s7
	v_mad_u32 v0, s3, s2, v0
	s_mov_b32 s2, exec_lo
	s_delay_alu instid0(VALU_DEP_1)
	v_cmpx_gt_i32_e64 s4, v0
	s_cbranch_execz .LBB6_31
; %bb.1:
	s_load_b32 s3, s[0:1], 0x60
	s_wait_kmcnt 0x0
	s_abs_i32 s4, s3
	s_delay_alu instid0(SALU_CYCLE_1) | instskip(SKIP_1) | instid1(SALU_CYCLE_2)
	s_cvt_f32_u32 s2, s4
	s_sub_co_i32 s7, 0, s4
	v_rcp_iflag_f32_e32 v1, s2
	v_nop
	s_delay_alu instid0(TRANS32_DEP_1) | instskip(SKIP_2) | instid1(VALU_DEP_1)
	v_readfirstlane_b32 s2, v1
	v_sub_nc_u32_e32 v1, 0, v0
	s_mul_f32 s2, s2, 0x4f7ffffe
	v_dual_ashrrev_i32 v0, 31, v0 :: v_dual_max_i32 v1, v0, v1
	s_delay_alu instid0(SALU_CYCLE_2) | instskip(NEXT) | instid1(SALU_CYCLE_3)
	s_cvt_u32_f32 s2, s2
	s_mul_i32 s7, s7, s2
	s_delay_alu instid0(SALU_CYCLE_1) | instskip(NEXT) | instid1(SALU_CYCLE_1)
	s_mul_hi_u32 s7, s2, s7
	s_add_co_i32 s2, s2, s7
	s_delay_alu instid0(SALU_CYCLE_1) | instskip(SKIP_3) | instid1(VALU_DEP_1)
	v_mul_hi_u32 v2, v1, s2
	s_clause 0x1
	s_load_b32 s2, s[0:1], 0x28
	s_load_b128 s[12:15], s[0:1], 0x18
	v_mul_lo_u32 v2, v2, s4
	s_wait_kmcnt 0x0
	s_cmp_lg_u32 s2, s3
	s_mov_b32 s3, -1
	s_delay_alu instid0(VALU_DEP_1) | instskip(NEXT) | instid1(VALU_DEP_1)
	v_sub_nc_u32_e32 v1, v1, v2
	v_subrev_nc_u32_e32 v2, s4, v1
	v_cmp_le_u32_e32 vcc_lo, s4, v1
	s_delay_alu instid0(VALU_DEP_2) | instskip(NEXT) | instid1(VALU_DEP_1)
	v_cndmask_b32_e32 v1, v1, v2, vcc_lo
	v_subrev_nc_u32_e32 v2, s4, v1
	v_cmp_le_u32_e32 vcc_lo, s4, v1
	s_delay_alu instid0(VALU_DEP_2) | instskip(NEXT) | instid1(VALU_DEP_1)
	v_cndmask_b32_e32 v1, v1, v2, vcc_lo
	v_xor_b32_e32 v1, v1, v0
	s_delay_alu instid0(VALU_DEP_1)
	v_sub_nc_u32_e32 v0, v1, v0
	s_cbranch_scc0 .LBB6_25
; %bb.2:
	s_delay_alu instid0(VALU_DEP_1)
	v_cvt_f32_i32_e32 v1, v0
	s_bitcmp0_b32 s6, 0
	s_mov_b32 s3, 0
	s_cbranch_scc0 .LBB6_4
; %bb.3:
	s_delay_alu instid0(VALU_DEP_1) | instskip(NEXT) | instid1(VALU_DEP_1)
	v_add_f32_e32 v2, 0.5, v1
	v_fma_f32 v2, s5, v2, -0.5
	s_delay_alu instid0(VALU_DEP_1)
	v_cmp_ngt_f32_e32 vcc_lo, 0, v2
	v_cndmask_b32_e32 v2, 0, v2, vcc_lo
	s_and_not1_b32 vcc_lo, exec_lo, s3
	s_cbranch_vccz .LBB6_5
	s_branch .LBB6_6
.LBB6_4:
                                        ; implicit-def: $vgpr2
.LBB6_5:
	s_delay_alu instid0(VALU_DEP_1)
	v_mul_f32_e32 v2, s5, v1
.LBB6_6:
	s_cmp_lt_i32 s12, 1
	s_cbranch_scc1 .LBB6_24
; %bb.7:
	s_clause 0x1
	s_load_b64 s[20:21], s[0:1], 0x78
	s_load_b256 s[4:11], s[0:1], 0x30
	v_cvt_i32_f32_e32 v4, v2
	s_add_co_i32 s2, s2, -1
	s_load_b128 s[16:19], s[0:1], 0x68
	s_cmp_gt_i32 s14, 0
	s_delay_alu instid0(VALU_DEP_1) | instskip(SKIP_3) | instid1(VALU_DEP_1)
	v_cmp_gt_i32_e32 vcc_lo, s2, v4
	s_load_b64 s[2:3], s[0:1], 0x10
	s_cselect_b32 s13, -1, 0
	v_add_co_ci_u32_e64 v6, null, 0, v4, vcc_lo
	v_dual_ashrrev_i32 v1, 31, v0 :: v_dual_ashrrev_i32 v7, 31, v6
	s_wait_kmcnt 0x0
	s_delay_alu instid0(VALU_DEP_1) | instskip(SKIP_3) | instid1(VALU_DEP_3)
	v_mul_u64_e32 v[8:9], s[20:21], v[0:1]
	v_cvt_f32_i32_e32 v1, v4
	v_ashrrev_i32_e32 v5, 31, v4
	v_mul_u64_e32 v[6:7], s[8:9], v[6:7]
	v_sub_f32_e32 v1, v2, v1
	s_delay_alu instid0(VALU_DEP_3) | instskip(SKIP_1) | instid1(VALU_DEP_2)
	v_mul_u64_e32 v[10:11], s[8:9], v[4:5]
	s_mov_b32 s9, 0
	v_sub_f32_e32 v20, 1.0, v1
	v_lshl_add_u64 v[2:3], v[8:9], 1, s[10:11]
	v_mov_b32_e32 v9, 0
	s_mov_b32 s10, s9
	v_lshl_add_u64 v[6:7], v[6:7], 1, s[2:3]
	v_lshl_add_u64 v[4:5], v[10:11], 1, s[2:3]
	s_branch .LBB6_9
.LBB6_8:                                ;   in Loop: Header=BB6_9 Depth=1
	s_add_co_i32 s10, s10, 1
	s_delay_alu instid0(SALU_CYCLE_1)
	s_cmp_eq_u32 s10, s12
	s_cbranch_scc1 .LBB6_24
.LBB6_9:                                ; =>This Loop Header: Depth=1
                                        ;     Child Loop BB6_12 Depth 2
                                        ;       Child Loop BB6_14 Depth 3
                                        ;       Child Loop BB6_20 Depth 3
	s_and_not1_b32 vcc_lo, exec_lo, s13
	s_cbranch_vccnz .LBB6_8
; %bb.10:                               ;   in Loop: Header=BB6_9 Depth=1
	s_mov_b32 s11, s9
	s_mov_b32 s8, 0
	s_mul_u64 s[2:3], s[4:5], s[10:11]
	s_mul_u64 s[20:21], s[16:17], s[10:11]
	s_lshl_b64 s[2:3], s[2:3], 1
	v_lshl_add_u64 v[14:15], s[20:21], 1, v[2:3]
	v_add_nc_u64_e32 v[10:11], s[2:3], v[4:5]
	v_add_nc_u64_e32 v[12:13], s[2:3], v[6:7]
	s_branch .LBB6_12
.LBB6_11:                               ;   in Loop: Header=BB6_12 Depth=2
	s_or_b32 exec_lo, exec_lo, s11
	s_add_co_i32 s8, s8, 1
	s_delay_alu instid0(SALU_CYCLE_1)
	s_cmp_eq_u32 s8, s14
	s_cbranch_scc1 .LBB6_8
.LBB6_12:                               ;   Parent Loop BB6_9 Depth=1
                                        ; =>  This Loop Header: Depth=2
                                        ;       Child Loop BB6_14 Depth 3
                                        ;       Child Loop BB6_20 Depth 3
	s_mul_u64 s[20:21], s[6:7], s[8:9]
	s_mul_u64 s[2:3], s[18:19], s[8:9]
	s_delay_alu instid0(VALU_DEP_2) | instskip(SKIP_2) | instid1(VALU_DEP_2)
	v_lshl_add_u64 v[16:17], s[20:21], 1, v[10:11]
	v_lshl_add_u64 v[22:23], s[2:3], 1, v[14:15]
	s_mov_b32 s11, 0
	v_and_b32_e32 v8, 2, v16
	global_load_u16 v22, v[22:23], off
	v_sub_nc_u64_e32 v[18:19], 0, v[8:9]
	v_cmp_ne_u32_e64 s2, 0, v8
	v_cmp_eq_u64_e32 vcc_lo, 0, v[8:9]
	s_delay_alu instid0(VALU_DEP_3)
	v_add_nc_u64_e32 v[16:17], v[16:17], v[18:19]
	global_load_b32 v19, v[16:17], off
	s_wait_loadcnt 0x1
	v_cvt_f32_f16_e32 v21, v22
	v_fma_mixlo_f16 v22, v20, v22, 0 op_sel_hi:[0,1,0]
	s_branch .LBB6_14
.LBB6_13:                               ;   in Loop: Header=BB6_14 Depth=3
	s_or_b32 exec_lo, exec_lo, s3
	global_atomic_cmpswap_b32 v8, v[16:17], v[18:19], off th:TH_ATOMIC_RETURN scope:SCOPE_DEV
	s_wait_loadcnt 0x0
	v_cmp_eq_u32_e64 s3, v19, v8
	v_mov_b32_e32 v19, v8
	s_or_b32 s11, s3, s11
	s_delay_alu instid0(SALU_CYCLE_1)
	s_and_not1_b32 exec_lo, exec_lo, s11
	s_cbranch_execz .LBB6_18
.LBB6_14:                               ;   Parent Loop BB6_9 Depth=1
                                        ;     Parent Loop BB6_12 Depth=2
                                        ; =>    This Inner Loop Header: Depth=3
	s_wait_loadcnt 0x0
	v_lshrrev_b32_e32 v8, 16, v19
	s_delay_alu instid0(VALU_DEP_1) | instskip(NEXT) | instid1(VALU_DEP_1)
	v_cndmask_b32_e32 v8, v8, v19, vcc_lo
	v_add_f16_e32 v8, v22, v8
	s_delay_alu instid0(VALU_DEP_1) | instskip(SKIP_1) | instid1(SALU_CYCLE_1)
	v_and_b32_e32 v8, 0xffff, v8
	s_and_saveexec_b32 s3, s2
	s_xor_b32 s3, exec_lo, s3
; %bb.15:                               ;   in Loop: Header=BB6_14 Depth=3
	v_and_b32_e32 v18, 0xffff, v19
	s_delay_alu instid0(VALU_DEP_1)
	v_lshl_or_b32 v18, v8, 16, v18
                                        ; implicit-def: $vgpr8
; %bb.16:                               ;   in Loop: Header=BB6_14 Depth=3
	s_and_not1_saveexec_b32 s3, s3
	s_cbranch_execz .LBB6_13
; %bb.17:                               ;   in Loop: Header=BB6_14 Depth=3
	v_and_or_b32 v18, 0xffff0000, v19, v8
	s_branch .LBB6_13
.LBB6_18:                               ;   in Loop: Header=BB6_12 Depth=2
	s_or_b32 exec_lo, exec_lo, s11
	v_lshl_add_u64 v[16:17], s[20:21], 1, v[12:13]
	v_fma_mixlo_f16 v21, v1, v21, 0
	s_mov_b32 s11, 0
	s_delay_alu instid0(VALU_DEP_2) | instskip(NEXT) | instid1(VALU_DEP_1)
	v_and_b32_e32 v8, 2, v16
	v_sub_nc_u64_e32 v[18:19], 0, v[8:9]
	v_cmp_ne_u32_e64 s2, 0, v8
	v_cmp_eq_u64_e32 vcc_lo, 0, v[8:9]
	s_delay_alu instid0(VALU_DEP_3)
	v_add_nc_u64_e32 v[16:17], v[16:17], v[18:19]
	global_load_b32 v19, v[16:17], off
	s_branch .LBB6_20
.LBB6_19:                               ;   in Loop: Header=BB6_20 Depth=3
	s_or_b32 exec_lo, exec_lo, s3
	global_atomic_cmpswap_b32 v8, v[16:17], v[18:19], off th:TH_ATOMIC_RETURN scope:SCOPE_DEV
	s_wait_loadcnt 0x0
	v_cmp_eq_u32_e64 s3, v19, v8
	v_mov_b32_e32 v19, v8
	s_or_b32 s11, s3, s11
	s_delay_alu instid0(SALU_CYCLE_1)
	s_and_not1_b32 exec_lo, exec_lo, s11
	s_cbranch_execz .LBB6_11
.LBB6_20:                               ;   Parent Loop BB6_9 Depth=1
                                        ;     Parent Loop BB6_12 Depth=2
                                        ; =>    This Inner Loop Header: Depth=3
	s_wait_loadcnt 0x0
	v_lshrrev_b32_e32 v8, 16, v19
	s_delay_alu instid0(VALU_DEP_1) | instskip(NEXT) | instid1(VALU_DEP_1)
	v_cndmask_b32_e32 v8, v8, v19, vcc_lo
	v_add_f16_e32 v8, v21, v8
	s_delay_alu instid0(VALU_DEP_1) | instskip(SKIP_1) | instid1(SALU_CYCLE_1)
	v_and_b32_e32 v8, 0xffff, v8
	s_and_saveexec_b32 s3, s2
	s_xor_b32 s3, exec_lo, s3
; %bb.21:                               ;   in Loop: Header=BB6_20 Depth=3
	v_and_b32_e32 v18, 0xffff, v19
	s_delay_alu instid0(VALU_DEP_1)
	v_lshl_or_b32 v18, v8, 16, v18
                                        ; implicit-def: $vgpr8
; %bb.22:                               ;   in Loop: Header=BB6_20 Depth=3
	s_and_not1_saveexec_b32 s3, s3
	s_cbranch_execz .LBB6_19
; %bb.23:                               ;   in Loop: Header=BB6_20 Depth=3
	v_and_or_b32 v18, 0xffff0000, v19, v8
	s_branch .LBB6_19
.LBB6_24:
	s_mov_b32 s3, 0
.LBB6_25:
	s_delay_alu instid0(SALU_CYCLE_1)
	s_and_b32 vcc_lo, exec_lo, s3
	s_cbranch_vccz .LBB6_31
; %bb.26:
	s_cmp_lt_i32 s12, 1
	s_cbranch_scc1 .LBB6_31
; %bb.27:
	s_clause 0x1
	s_load_b64 s[2:3], s[0:1], 0x78
	s_load_b256 s[4:11], s[0:1], 0x30
	v_ashrrev_i32_e32 v1, 31, v0
	s_load_b128 s[16:19], s[0:1], 0x68
	s_cmp_gt_i32 s14, 0
	s_wait_kmcnt 0x0
	s_delay_alu instid0(VALU_DEP_1)
	v_mul_u64_e32 v[2:3], s[2:3], v[0:1]
	v_mul_u64_e32 v[4:5], s[8:9], v[0:1]
	s_load_b64 s[2:3], s[0:1], 0x10
	s_mov_b32 s8, 0
	s_cselect_b32 s9, -1, 0
	s_wait_xcnt 0x0
	s_lshl_b64 s[0:1], s[4:5], 1
	s_lshl_b64 s[4:5], s[16:17], 1
	s_delay_alu instid0(VALU_DEP_2) | instskip(SKIP_1) | instid1(VALU_DEP_2)
	v_lshl_add_u64 v[0:1], v[2:3], 1, s[10:11]
	s_wait_kmcnt 0x0
	v_lshl_add_u64 v[2:3], v[4:5], 1, s[2:3]
	s_lshl_b64 s[2:3], s[6:7], 1
	s_lshl_b64 s[6:7], s[18:19], 1
	s_branch .LBB6_29
.LBB6_28:                               ;   in Loop: Header=BB6_29 Depth=1
	v_add_nc_u64_e32 v[2:3], s[0:1], v[2:3]
	v_add_nc_u64_e32 v[0:1], s[4:5], v[0:1]
	s_add_co_i32 s8, s8, 1
	s_delay_alu instid0(SALU_CYCLE_1)
	s_cmp_eq_u32 s8, s12
	s_cbranch_scc1 .LBB6_31
.LBB6_29:                               ; =>This Loop Header: Depth=1
                                        ;     Child Loop BB6_30 Depth 2
	s_delay_alu instid0(VALU_DEP_1) | instskip(NEXT) | instid1(VALU_DEP_2)
	v_mov_b64_e32 v[4:5], v[0:1]
	v_mov_b64_e32 v[6:7], v[2:3]
	s_and_not1_b32 vcc_lo, exec_lo, s9
	s_mov_b32 s10, s14
	s_cbranch_vccnz .LBB6_28
.LBB6_30:                               ;   Parent Loop BB6_29 Depth=1
                                        ; =>  This Inner Loop Header: Depth=2
	global_load_u16 v8, v[4:5], off
	s_wait_xcnt 0x0
	v_add_nc_u64_e32 v[4:5], s[6:7], v[4:5]
	s_add_co_i32 s10, s10, -1
	s_delay_alu instid0(SALU_CYCLE_1)
	s_cmp_eq_u32 s10, 0
	s_wait_loadcnt 0x0
	global_store_b16 v[6:7], v8, off
	s_wait_xcnt 0x0
	v_add_nc_u64_e32 v[6:7], s[2:3], v[6:7]
	s_cbranch_scc0 .LBB6_30
	s_branch .LBB6_28
.LBB6_31:
	s_endpgm
	.section	.rodata,"a",@progbits
	.p2align	6, 0x0
	.amdhsa_kernel _ZN2at6native12_GLOBAL__N_136upsample_linear1d_out_frame_backwardIN3c104HalfEfEEviT0_bN5torch10headeronly6detail27GenericPackedTensorAccessorINS8_14TensorAccessorINS3_8ArrayRefIlEET_Lm2ENS7_16DefaultPtrTraitsElEENS_6detail16IndexBoundsCheckILm3ElEESD_Lm3ESE_lEENS9_INSA_ISC_KSD_Lm2ESE_lEESI_SK_Lm3ESE_lEE
		.amdhsa_group_segment_fixed_size 0
		.amdhsa_private_segment_fixed_size 0
		.amdhsa_kernarg_size 384
		.amdhsa_user_sgpr_count 2
		.amdhsa_user_sgpr_dispatch_ptr 0
		.amdhsa_user_sgpr_queue_ptr 0
		.amdhsa_user_sgpr_kernarg_segment_ptr 1
		.amdhsa_user_sgpr_dispatch_id 0
		.amdhsa_user_sgpr_kernarg_preload_length 0
		.amdhsa_user_sgpr_kernarg_preload_offset 0
		.amdhsa_user_sgpr_private_segment_size 0
		.amdhsa_wavefront_size32 1
		.amdhsa_uses_dynamic_stack 0
		.amdhsa_enable_private_segment 0
		.amdhsa_system_sgpr_workgroup_id_x 1
		.amdhsa_system_sgpr_workgroup_id_y 0
		.amdhsa_system_sgpr_workgroup_id_z 0
		.amdhsa_system_sgpr_workgroup_info 0
		.amdhsa_system_vgpr_workitem_id 0
		.amdhsa_next_free_vgpr 24
		.amdhsa_next_free_sgpr 22
		.amdhsa_named_barrier_count 0
		.amdhsa_reserve_vcc 1
		.amdhsa_float_round_mode_32 0
		.amdhsa_float_round_mode_16_64 0
		.amdhsa_float_denorm_mode_32 3
		.amdhsa_float_denorm_mode_16_64 3
		.amdhsa_fp16_overflow 0
		.amdhsa_memory_ordered 1
		.amdhsa_forward_progress 1
		.amdhsa_inst_pref_size 11
		.amdhsa_round_robin_scheduling 0
		.amdhsa_exception_fp_ieee_invalid_op 0
		.amdhsa_exception_fp_denorm_src 0
		.amdhsa_exception_fp_ieee_div_zero 0
		.amdhsa_exception_fp_ieee_overflow 0
		.amdhsa_exception_fp_ieee_underflow 0
		.amdhsa_exception_fp_ieee_inexact 0
		.amdhsa_exception_int_div_zero 0
	.end_amdhsa_kernel
	.section	.text._ZN2at6native12_GLOBAL__N_136upsample_linear1d_out_frame_backwardIN3c104HalfEfEEviT0_bN5torch10headeronly6detail27GenericPackedTensorAccessorINS8_14TensorAccessorINS3_8ArrayRefIlEET_Lm2ENS7_16DefaultPtrTraitsElEENS_6detail16IndexBoundsCheckILm3ElEESD_Lm3ESE_lEENS9_INSA_ISC_KSD_Lm2ESE_lEESI_SK_Lm3ESE_lEE,"axG",@progbits,_ZN2at6native12_GLOBAL__N_136upsample_linear1d_out_frame_backwardIN3c104HalfEfEEviT0_bN5torch10headeronly6detail27GenericPackedTensorAccessorINS8_14TensorAccessorINS3_8ArrayRefIlEET_Lm2ENS7_16DefaultPtrTraitsElEENS_6detail16IndexBoundsCheckILm3ElEESD_Lm3ESE_lEENS9_INSA_ISC_KSD_Lm2ESE_lEESI_SK_Lm3ESE_lEE,comdat
.Lfunc_end6:
	.size	_ZN2at6native12_GLOBAL__N_136upsample_linear1d_out_frame_backwardIN3c104HalfEfEEviT0_bN5torch10headeronly6detail27GenericPackedTensorAccessorINS8_14TensorAccessorINS3_8ArrayRefIlEET_Lm2ENS7_16DefaultPtrTraitsElEENS_6detail16IndexBoundsCheckILm3ElEESD_Lm3ESE_lEENS9_INSA_ISC_KSD_Lm2ESE_lEESI_SK_Lm3ESE_lEE, .Lfunc_end6-_ZN2at6native12_GLOBAL__N_136upsample_linear1d_out_frame_backwardIN3c104HalfEfEEviT0_bN5torch10headeronly6detail27GenericPackedTensorAccessorINS8_14TensorAccessorINS3_8ArrayRefIlEET_Lm2ENS7_16DefaultPtrTraitsElEENS_6detail16IndexBoundsCheckILm3ElEESD_Lm3ESE_lEENS9_INSA_ISC_KSD_Lm2ESE_lEESI_SK_Lm3ESE_lEE
                                        ; -- End function
	.set _ZN2at6native12_GLOBAL__N_136upsample_linear1d_out_frame_backwardIN3c104HalfEfEEviT0_bN5torch10headeronly6detail27GenericPackedTensorAccessorINS8_14TensorAccessorINS3_8ArrayRefIlEET_Lm2ENS7_16DefaultPtrTraitsElEENS_6detail16IndexBoundsCheckILm3ElEESD_Lm3ESE_lEENS9_INSA_ISC_KSD_Lm2ESE_lEESI_SK_Lm3ESE_lEE.num_vgpr, 24
	.set _ZN2at6native12_GLOBAL__N_136upsample_linear1d_out_frame_backwardIN3c104HalfEfEEviT0_bN5torch10headeronly6detail27GenericPackedTensorAccessorINS8_14TensorAccessorINS3_8ArrayRefIlEET_Lm2ENS7_16DefaultPtrTraitsElEENS_6detail16IndexBoundsCheckILm3ElEESD_Lm3ESE_lEENS9_INSA_ISC_KSD_Lm2ESE_lEESI_SK_Lm3ESE_lEE.num_agpr, 0
	.set _ZN2at6native12_GLOBAL__N_136upsample_linear1d_out_frame_backwardIN3c104HalfEfEEviT0_bN5torch10headeronly6detail27GenericPackedTensorAccessorINS8_14TensorAccessorINS3_8ArrayRefIlEET_Lm2ENS7_16DefaultPtrTraitsElEENS_6detail16IndexBoundsCheckILm3ElEESD_Lm3ESE_lEENS9_INSA_ISC_KSD_Lm2ESE_lEESI_SK_Lm3ESE_lEE.numbered_sgpr, 22
	.set _ZN2at6native12_GLOBAL__N_136upsample_linear1d_out_frame_backwardIN3c104HalfEfEEviT0_bN5torch10headeronly6detail27GenericPackedTensorAccessorINS8_14TensorAccessorINS3_8ArrayRefIlEET_Lm2ENS7_16DefaultPtrTraitsElEENS_6detail16IndexBoundsCheckILm3ElEESD_Lm3ESE_lEENS9_INSA_ISC_KSD_Lm2ESE_lEESI_SK_Lm3ESE_lEE.num_named_barrier, 0
	.set _ZN2at6native12_GLOBAL__N_136upsample_linear1d_out_frame_backwardIN3c104HalfEfEEviT0_bN5torch10headeronly6detail27GenericPackedTensorAccessorINS8_14TensorAccessorINS3_8ArrayRefIlEET_Lm2ENS7_16DefaultPtrTraitsElEENS_6detail16IndexBoundsCheckILm3ElEESD_Lm3ESE_lEENS9_INSA_ISC_KSD_Lm2ESE_lEESI_SK_Lm3ESE_lEE.private_seg_size, 0
	.set _ZN2at6native12_GLOBAL__N_136upsample_linear1d_out_frame_backwardIN3c104HalfEfEEviT0_bN5torch10headeronly6detail27GenericPackedTensorAccessorINS8_14TensorAccessorINS3_8ArrayRefIlEET_Lm2ENS7_16DefaultPtrTraitsElEENS_6detail16IndexBoundsCheckILm3ElEESD_Lm3ESE_lEENS9_INSA_ISC_KSD_Lm2ESE_lEESI_SK_Lm3ESE_lEE.uses_vcc, 1
	.set _ZN2at6native12_GLOBAL__N_136upsample_linear1d_out_frame_backwardIN3c104HalfEfEEviT0_bN5torch10headeronly6detail27GenericPackedTensorAccessorINS8_14TensorAccessorINS3_8ArrayRefIlEET_Lm2ENS7_16DefaultPtrTraitsElEENS_6detail16IndexBoundsCheckILm3ElEESD_Lm3ESE_lEENS9_INSA_ISC_KSD_Lm2ESE_lEESI_SK_Lm3ESE_lEE.uses_flat_scratch, 0
	.set _ZN2at6native12_GLOBAL__N_136upsample_linear1d_out_frame_backwardIN3c104HalfEfEEviT0_bN5torch10headeronly6detail27GenericPackedTensorAccessorINS8_14TensorAccessorINS3_8ArrayRefIlEET_Lm2ENS7_16DefaultPtrTraitsElEENS_6detail16IndexBoundsCheckILm3ElEESD_Lm3ESE_lEENS9_INSA_ISC_KSD_Lm2ESE_lEESI_SK_Lm3ESE_lEE.has_dyn_sized_stack, 0
	.set _ZN2at6native12_GLOBAL__N_136upsample_linear1d_out_frame_backwardIN3c104HalfEfEEviT0_bN5torch10headeronly6detail27GenericPackedTensorAccessorINS8_14TensorAccessorINS3_8ArrayRefIlEET_Lm2ENS7_16DefaultPtrTraitsElEENS_6detail16IndexBoundsCheckILm3ElEESD_Lm3ESE_lEENS9_INSA_ISC_KSD_Lm2ESE_lEESI_SK_Lm3ESE_lEE.has_recursion, 0
	.set _ZN2at6native12_GLOBAL__N_136upsample_linear1d_out_frame_backwardIN3c104HalfEfEEviT0_bN5torch10headeronly6detail27GenericPackedTensorAccessorINS8_14TensorAccessorINS3_8ArrayRefIlEET_Lm2ENS7_16DefaultPtrTraitsElEENS_6detail16IndexBoundsCheckILm3ElEESD_Lm3ESE_lEENS9_INSA_ISC_KSD_Lm2ESE_lEESI_SK_Lm3ESE_lEE.has_indirect_call, 0
	.section	.AMDGPU.csdata,"",@progbits
; Kernel info:
; codeLenInByte = 1316
; TotalNumSgprs: 24
; NumVgprs: 24
; ScratchSize: 0
; MemoryBound: 0
; FloatMode: 240
; IeeeMode: 1
; LDSByteSize: 0 bytes/workgroup (compile time only)
; SGPRBlocks: 0
; VGPRBlocks: 1
; NumSGPRsForWavesPerEU: 24
; NumVGPRsForWavesPerEU: 24
; NamedBarCnt: 0
; Occupancy: 16
; WaveLimiterHint : 1
; COMPUTE_PGM_RSRC2:SCRATCH_EN: 0
; COMPUTE_PGM_RSRC2:USER_SGPR: 2
; COMPUTE_PGM_RSRC2:TRAP_HANDLER: 0
; COMPUTE_PGM_RSRC2:TGID_X_EN: 1
; COMPUTE_PGM_RSRC2:TGID_Y_EN: 0
; COMPUTE_PGM_RSRC2:TGID_Z_EN: 0
; COMPUTE_PGM_RSRC2:TIDIG_COMP_CNT: 0
	.section	.text._ZN2at6native12_GLOBAL__N_136upsample_linear1d_out_frame_backwardIN3c108BFloat16EfEEviT0_bN5torch10headeronly6detail27GenericPackedTensorAccessorINS8_14TensorAccessorINS3_8ArrayRefIlEET_Lm2ENS7_16DefaultPtrTraitsElEENS_6detail16IndexBoundsCheckILm3ElEESD_Lm3ESE_lEENS9_INSA_ISC_KSD_Lm2ESE_lEESI_SK_Lm3ESE_lEE,"axG",@progbits,_ZN2at6native12_GLOBAL__N_136upsample_linear1d_out_frame_backwardIN3c108BFloat16EfEEviT0_bN5torch10headeronly6detail27GenericPackedTensorAccessorINS8_14TensorAccessorINS3_8ArrayRefIlEET_Lm2ENS7_16DefaultPtrTraitsElEENS_6detail16IndexBoundsCheckILm3ElEESD_Lm3ESE_lEENS9_INSA_ISC_KSD_Lm2ESE_lEESI_SK_Lm3ESE_lEE,comdat
	.globl	_ZN2at6native12_GLOBAL__N_136upsample_linear1d_out_frame_backwardIN3c108BFloat16EfEEviT0_bN5torch10headeronly6detail27GenericPackedTensorAccessorINS8_14TensorAccessorINS3_8ArrayRefIlEET_Lm2ENS7_16DefaultPtrTraitsElEENS_6detail16IndexBoundsCheckILm3ElEESD_Lm3ESE_lEENS9_INSA_ISC_KSD_Lm2ESE_lEESI_SK_Lm3ESE_lEE ; -- Begin function _ZN2at6native12_GLOBAL__N_136upsample_linear1d_out_frame_backwardIN3c108BFloat16EfEEviT0_bN5torch10headeronly6detail27GenericPackedTensorAccessorINS8_14TensorAccessorINS3_8ArrayRefIlEET_Lm2ENS7_16DefaultPtrTraitsElEENS_6detail16IndexBoundsCheckILm3ElEESD_Lm3ESE_lEENS9_INSA_ISC_KSD_Lm2ESE_lEESI_SK_Lm3ESE_lEE
	.p2align	8
	.type	_ZN2at6native12_GLOBAL__N_136upsample_linear1d_out_frame_backwardIN3c108BFloat16EfEEviT0_bN5torch10headeronly6detail27GenericPackedTensorAccessorINS8_14TensorAccessorINS3_8ArrayRefIlEET_Lm2ENS7_16DefaultPtrTraitsElEENS_6detail16IndexBoundsCheckILm3ElEESD_Lm3ESE_lEENS9_INSA_ISC_KSD_Lm2ESE_lEESI_SK_Lm3ESE_lEE,@function
_ZN2at6native12_GLOBAL__N_136upsample_linear1d_out_frame_backwardIN3c108BFloat16EfEEviT0_bN5torch10headeronly6detail27GenericPackedTensorAccessorINS8_14TensorAccessorINS3_8ArrayRefIlEET_Lm2ENS7_16DefaultPtrTraitsElEENS_6detail16IndexBoundsCheckILm3ElEESD_Lm3ESE_lEENS9_INSA_ISC_KSD_Lm2ESE_lEESI_SK_Lm3ESE_lEE: ; @_ZN2at6native12_GLOBAL__N_136upsample_linear1d_out_frame_backwardIN3c108BFloat16EfEEviT0_bN5torch10headeronly6detail27GenericPackedTensorAccessorINS8_14TensorAccessorINS3_8ArrayRefIlEET_Lm2ENS7_16DefaultPtrTraitsElEENS_6detail16IndexBoundsCheckILm3ElEESD_Lm3ESE_lEENS9_INSA_ISC_KSD_Lm2ESE_lEESI_SK_Lm3ESE_lEE
; %bb.0:
	s_clause 0x1
	s_load_b32 s2, s[0:1], 0x8c
	s_load_b96 s[4:6], s[0:1], 0x0
	s_bfe_u32 s3, ttmp6, 0x4000c
	s_and_b32 s7, ttmp6, 15
	s_add_co_i32 s3, s3, 1
	s_getreg_b32 s8, hwreg(HW_REG_IB_STS2, 6, 4)
	s_mul_i32 s3, ttmp9, s3
	s_delay_alu instid0(SALU_CYCLE_1) | instskip(SKIP_4) | instid1(SALU_CYCLE_1)
	s_add_co_i32 s7, s7, s3
	s_wait_kmcnt 0x0
	s_and_b32 s2, s2, 0xffff
	s_cmp_eq_u32 s8, 0
	s_cselect_b32 s3, ttmp9, s7
	v_mad_u32 v0, s3, s2, v0
	s_mov_b32 s2, exec_lo
	s_delay_alu instid0(VALU_DEP_1)
	v_cmpx_gt_i32_e64 s4, v0
	s_cbranch_execz .LBB7_23
; %bb.1:
	s_load_b32 s3, s[0:1], 0x60
	s_wait_kmcnt 0x0
	s_abs_i32 s4, s3
	s_delay_alu instid0(SALU_CYCLE_1) | instskip(SKIP_1) | instid1(SALU_CYCLE_2)
	s_cvt_f32_u32 s2, s4
	s_sub_co_i32 s7, 0, s4
	v_rcp_iflag_f32_e32 v1, s2
	v_nop
	s_delay_alu instid0(TRANS32_DEP_1) | instskip(SKIP_2) | instid1(VALU_DEP_1)
	v_readfirstlane_b32 s2, v1
	v_sub_nc_u32_e32 v1, 0, v0
	s_mul_f32 s2, s2, 0x4f7ffffe
	v_dual_ashrrev_i32 v0, 31, v0 :: v_dual_max_i32 v1, v0, v1
	s_delay_alu instid0(SALU_CYCLE_2) | instskip(NEXT) | instid1(SALU_CYCLE_3)
	s_cvt_u32_f32 s2, s2
	s_mul_i32 s7, s7, s2
	s_delay_alu instid0(SALU_CYCLE_1) | instskip(NEXT) | instid1(SALU_CYCLE_1)
	s_mul_hi_u32 s7, s2, s7
	s_add_co_i32 s2, s2, s7
	s_delay_alu instid0(SALU_CYCLE_1) | instskip(SKIP_3) | instid1(VALU_DEP_1)
	v_mul_hi_u32 v2, v1, s2
	s_clause 0x1
	s_load_b32 s2, s[0:1], 0x28
	s_load_b128 s[12:15], s[0:1], 0x18
	v_mul_lo_u32 v2, v2, s4
	s_wait_kmcnt 0x0
	s_cmp_lg_u32 s2, s3
	s_mov_b32 s3, -1
	s_delay_alu instid0(VALU_DEP_1) | instskip(NEXT) | instid1(VALU_DEP_1)
	v_sub_nc_u32_e32 v1, v1, v2
	v_subrev_nc_u32_e32 v2, s4, v1
	v_cmp_le_u32_e32 vcc_lo, s4, v1
	s_delay_alu instid0(VALU_DEP_2) | instskip(NEXT) | instid1(VALU_DEP_1)
	v_cndmask_b32_e32 v1, v1, v2, vcc_lo
	v_subrev_nc_u32_e32 v2, s4, v1
	v_cmp_le_u32_e32 vcc_lo, s4, v1
	s_delay_alu instid0(VALU_DEP_2) | instskip(NEXT) | instid1(VALU_DEP_1)
	v_cndmask_b32_e32 v1, v1, v2, vcc_lo
	v_xor_b32_e32 v1, v1, v0
	s_delay_alu instid0(VALU_DEP_1)
	v_sub_nc_u32_e32 v0, v1, v0
	s_cbranch_scc0 .LBB7_17
; %bb.2:
	s_delay_alu instid0(VALU_DEP_1)
	v_cvt_f32_i32_e32 v1, v0
	s_bitcmp0_b32 s6, 0
	s_mov_b32 s3, 0
	s_cbranch_scc0 .LBB7_4
; %bb.3:
	s_delay_alu instid0(VALU_DEP_1) | instskip(NEXT) | instid1(VALU_DEP_1)
	v_add_f32_e32 v2, 0.5, v1
	v_fma_f32 v2, s5, v2, -0.5
	s_delay_alu instid0(VALU_DEP_1)
	v_cmp_ngt_f32_e32 vcc_lo, 0, v2
	v_cndmask_b32_e32 v2, 0, v2, vcc_lo
	s_and_not1_b32 vcc_lo, exec_lo, s3
	s_cbranch_vccz .LBB7_5
	s_branch .LBB7_6
.LBB7_4:
                                        ; implicit-def: $vgpr2
.LBB7_5:
	s_delay_alu instid0(VALU_DEP_1)
	v_mul_f32_e32 v2, s5, v1
.LBB7_6:
	s_cmp_lt_i32 s12, 1
	s_cbranch_scc1 .LBB7_16
; %bb.7:
	s_clause 0x1
	s_load_b64 s[20:21], s[0:1], 0x78
	s_load_b256 s[4:11], s[0:1], 0x30
	v_cvt_i32_f32_e32 v4, v2
	s_add_co_i32 s2, s2, -1
	s_load_b128 s[16:19], s[0:1], 0x68
	s_cmp_gt_i32 s14, 0
	s_delay_alu instid0(VALU_DEP_1) | instskip(SKIP_2) | instid1(VALU_DEP_1)
	v_cmp_gt_i32_e32 vcc_lo, s2, v4
	s_cselect_b32 s3, -1, 0
	v_add_co_ci_u32_e64 v6, null, 0, v4, vcc_lo
	v_dual_ashrrev_i32 v1, 31, v0 :: v_dual_ashrrev_i32 v7, 31, v6
	s_wait_kmcnt 0x0
	s_delay_alu instid0(VALU_DEP_1) | instskip(SKIP_3) | instid1(VALU_DEP_3)
	v_mul_u64_e32 v[8:9], s[20:21], v[0:1]
	v_cvt_f32_i32_e32 v1, v4
	v_ashrrev_i32_e32 v5, 31, v4
	v_mul_u64_e32 v[6:7], s[8:9], v[6:7]
	v_sub_f32_e32 v1, v2, v1
	s_delay_alu instid0(VALU_DEP_3) | instskip(SKIP_1) | instid1(VALU_DEP_2)
	v_mul_u64_e32 v[10:11], s[8:9], v[4:5]
	s_load_b64 s[8:9], s[0:1], 0x10
	v_sub_f32_e32 v20, 1.0, v1
	v_lshl_add_u64 v[2:3], v[8:9], 1, s[10:11]
	v_mov_b32_e32 v9, 0
	s_wait_kmcnt 0x0
	v_lshl_add_u64 v[6:7], v[6:7], 1, s[8:9]
	v_lshl_add_u64 v[4:5], v[10:11], 1, s[8:9]
	s_mov_b32 s9, 0
	s_delay_alu instid0(SALU_CYCLE_1)
	s_mov_b32 s10, s9
	s_branch .LBB7_9
.LBB7_8:                                ;   in Loop: Header=BB7_9 Depth=1
	s_add_co_i32 s10, s10, 1
	s_delay_alu instid0(SALU_CYCLE_1)
	s_cmp_eq_u32 s10, s12
	s_cbranch_scc1 .LBB7_16
.LBB7_9:                                ; =>This Loop Header: Depth=1
                                        ;     Child Loop BB7_11 Depth 2
                                        ;       Child Loop BB7_12 Depth 3
                                        ;       Child Loop BB7_14 Depth 3
	s_and_not1_b32 vcc_lo, exec_lo, s3
	s_cbranch_vccnz .LBB7_8
; %bb.10:                               ;   in Loop: Header=BB7_9 Depth=1
	s_mov_b32 s11, s9
	s_mov_b32 s8, 0
	s_mul_u64 s[20:21], s[4:5], s[10:11]
	s_mul_u64 s[22:23], s[16:17], s[10:11]
	s_lshl_b64 s[20:21], s[20:21], 1
	v_lshl_add_u64 v[14:15], s[22:23], 1, v[2:3]
	v_add_nc_u64_e32 v[10:11], s[20:21], v[4:5]
	v_add_nc_u64_e32 v[12:13], s[20:21], v[6:7]
.LBB7_11:                               ;   Parent Loop BB7_9 Depth=1
                                        ; =>  This Loop Header: Depth=2
                                        ;       Child Loop BB7_12 Depth 3
                                        ;       Child Loop BB7_14 Depth 3
	s_mul_u64 s[20:21], s[18:19], s[8:9]
	s_mov_b32 s11, 0
	v_lshl_add_u64 v[16:17], s[20:21], 1, v[14:15]
	s_mul_u64 s[20:21], s[6:7], s[8:9]
	global_load_u16 v21, v[16:17], off
	s_wait_xcnt 0x0
	v_lshl_add_u64 v[16:17], s[20:21], 1, v[10:11]
	s_wait_loadcnt 0x0
	s_delay_alu instid0(VALU_DEP_1) | instskip(NEXT) | instid1(VALU_DEP_1)
	v_dual_lshlrev_b32 v21, 16, v21 :: v_dual_bitop2_b32 v8, 2, v16 bitop3:0x40
	v_sub_nc_u64_e32 v[18:19], 0, v[8:9]
	v_cmp_eq_u64_e32 vcc_lo, 0, v[8:9]
	s_delay_alu instid0(VALU_DEP_2) | instskip(NEXT) | instid1(VALU_DEP_4)
	v_add_nc_u64_e32 v[16:17], v[16:17], v[18:19]
	v_mul_f32_e32 v18, v20, v21
	s_delay_alu instid0(VALU_DEP_1) | instskip(SKIP_3) | instid1(VALU_DEP_1)
	v_bfe_u32 v22, v18, 16, 1
	global_load_b32 v19, v[16:17], off
	v_cmp_o_f32_e64 s2, v18, v18
	v_add3_u32 v22, v18, v22, 0x7fff
	v_and_b32_e32 v22, 0xffff0000, v22
	s_delay_alu instid0(VALU_DEP_1)
	v_cndmask_b32_e64 v8, 0x7fc00000, v22, s2
.LBB7_12:                               ;   Parent Loop BB7_9 Depth=1
                                        ;     Parent Loop BB7_11 Depth=2
                                        ; =>    This Inner Loop Header: Depth=3
	s_wait_loadcnt 0x0
	v_lshrrev_b32_e32 v18, 16, v19
	v_and_b32_e32 v22, 0xffff, v19
	s_delay_alu instid0(VALU_DEP_1) | instskip(NEXT) | instid1(VALU_DEP_1)
	v_cndmask_b32_e32 v18, v18, v22, vcc_lo
	v_lshlrev_b32_e32 v18, 16, v18
	s_delay_alu instid0(VALU_DEP_1) | instskip(NEXT) | instid1(VALU_DEP_1)
	v_add_f32_e32 v18, v8, v18
	v_bfe_u32 v23, v18, 16, 1
	v_cmp_o_f32_e64 s2, v18, v18
	s_delay_alu instid0(VALU_DEP_2) | instskip(NEXT) | instid1(VALU_DEP_1)
	v_add3_u32 v23, v18, v23, 0x7fff
	v_lshrrev_b32_e32 v23, 16, v23
	s_delay_alu instid0(VALU_DEP_1) | instskip(NEXT) | instid1(VALU_DEP_1)
	v_cndmask_b32_e64 v18, 0x7fc0, v23, s2
	v_lshl_or_b32 v22, v18, 16, v22
	v_and_or_b32 v18, 0xffff0000, v19, v18
	s_delay_alu instid0(VALU_DEP_1)
	v_cndmask_b32_e32 v18, v22, v18, vcc_lo
	global_atomic_cmpswap_b32 v18, v[16:17], v[18:19], off th:TH_ATOMIC_RETURN scope:SCOPE_DEV
	s_wait_loadcnt 0x0
	v_cmp_eq_u32_e64 s2, v19, v18
	v_mov_b32_e32 v19, v18
	s_or_b32 s11, s2, s11
	s_delay_alu instid0(SALU_CYCLE_1)
	s_and_not1_b32 exec_lo, exec_lo, s11
	s_cbranch_execnz .LBB7_12
; %bb.13:                               ;   in Loop: Header=BB7_11 Depth=2
	s_or_b32 exec_lo, exec_lo, s11
	v_lshl_add_u64 v[16:17], s[20:21], 1, v[12:13]
	s_mov_b32 s11, 0
	s_delay_alu instid0(VALU_DEP_1) | instskip(NEXT) | instid1(VALU_DEP_1)
	v_and_b32_e32 v8, 2, v16
	v_sub_nc_u64_e32 v[18:19], 0, v[8:9]
	s_delay_alu instid0(VALU_DEP_1) | instskip(SKIP_2) | instid1(VALU_DEP_2)
	v_add_nc_u64_e32 v[16:17], v[16:17], v[18:19]
	v_mul_f32_e32 v18, v1, v21
	v_cmp_eq_u64_e32 vcc_lo, 0, v[8:9]
	v_bfe_u32 v21, v18, 16, 1
	global_load_b32 v19, v[16:17], off
	v_cmp_o_f32_e64 s2, v18, v18
	v_add3_u32 v21, v18, v21, 0x7fff
	s_delay_alu instid0(VALU_DEP_1) | instskip(NEXT) | instid1(VALU_DEP_1)
	v_and_b32_e32 v21, 0xffff0000, v21
	v_cndmask_b32_e64 v8, 0x7fc00000, v21, s2
.LBB7_14:                               ;   Parent Loop BB7_9 Depth=1
                                        ;     Parent Loop BB7_11 Depth=2
                                        ; =>    This Inner Loop Header: Depth=3
	s_wait_loadcnt 0x0
	v_lshrrev_b32_e32 v18, 16, v19
	v_and_b32_e32 v21, 0xffff, v19
	s_delay_alu instid0(VALU_DEP_1) | instskip(NEXT) | instid1(VALU_DEP_1)
	v_cndmask_b32_e32 v18, v18, v21, vcc_lo
	v_lshlrev_b32_e32 v18, 16, v18
	s_delay_alu instid0(VALU_DEP_1) | instskip(NEXT) | instid1(VALU_DEP_1)
	v_add_f32_e32 v18, v8, v18
	v_bfe_u32 v22, v18, 16, 1
	v_cmp_o_f32_e64 s2, v18, v18
	s_delay_alu instid0(VALU_DEP_2) | instskip(NEXT) | instid1(VALU_DEP_1)
	v_add3_u32 v22, v18, v22, 0x7fff
	v_lshrrev_b32_e32 v22, 16, v22
	s_delay_alu instid0(VALU_DEP_1) | instskip(NEXT) | instid1(VALU_DEP_1)
	v_cndmask_b32_e64 v18, 0x7fc0, v22, s2
	v_lshl_or_b32 v21, v18, 16, v21
	v_and_or_b32 v18, 0xffff0000, v19, v18
	s_delay_alu instid0(VALU_DEP_1)
	v_cndmask_b32_e32 v18, v21, v18, vcc_lo
	global_atomic_cmpswap_b32 v18, v[16:17], v[18:19], off th:TH_ATOMIC_RETURN scope:SCOPE_DEV
	s_wait_loadcnt 0x0
	v_cmp_eq_u32_e64 s2, v19, v18
	v_mov_b32_e32 v19, v18
	s_or_b32 s11, s2, s11
	s_delay_alu instid0(SALU_CYCLE_1)
	s_and_not1_b32 exec_lo, exec_lo, s11
	s_cbranch_execnz .LBB7_14
; %bb.15:                               ;   in Loop: Header=BB7_11 Depth=2
	s_or_b32 exec_lo, exec_lo, s11
	s_add_co_i32 s8, s8, 1
	s_delay_alu instid0(SALU_CYCLE_1)
	s_cmp_eq_u32 s8, s14
	s_cbranch_scc0 .LBB7_11
	s_branch .LBB7_8
.LBB7_16:
	s_mov_b32 s3, 0
.LBB7_17:
	s_delay_alu instid0(SALU_CYCLE_1)
	s_and_b32 vcc_lo, exec_lo, s3
	s_cbranch_vccz .LBB7_23
; %bb.18:
	s_cmp_lt_i32 s12, 1
	s_cbranch_scc1 .LBB7_23
; %bb.19:
	s_clause 0x1
	s_load_b64 s[2:3], s[0:1], 0x78
	s_load_b256 s[4:11], s[0:1], 0x30
	v_ashrrev_i32_e32 v1, 31, v0
	s_load_b128 s[16:19], s[0:1], 0x68
	s_cmp_gt_i32 s14, 0
	s_wait_kmcnt 0x0
	s_delay_alu instid0(VALU_DEP_1)
	v_mul_u64_e32 v[2:3], s[2:3], v[0:1]
	v_mul_u64_e32 v[4:5], s[8:9], v[0:1]
	s_load_b64 s[2:3], s[0:1], 0x10
	s_mov_b32 s8, 0
	s_cselect_b32 s9, -1, 0
	s_wait_xcnt 0x0
	s_lshl_b64 s[0:1], s[4:5], 1
	s_lshl_b64 s[4:5], s[16:17], 1
	s_delay_alu instid0(VALU_DEP_2) | instskip(SKIP_1) | instid1(VALU_DEP_2)
	v_lshl_add_u64 v[0:1], v[2:3], 1, s[10:11]
	s_wait_kmcnt 0x0
	v_lshl_add_u64 v[2:3], v[4:5], 1, s[2:3]
	s_lshl_b64 s[2:3], s[6:7], 1
	s_lshl_b64 s[6:7], s[18:19], 1
	s_branch .LBB7_21
.LBB7_20:                               ;   in Loop: Header=BB7_21 Depth=1
	v_add_nc_u64_e32 v[2:3], s[0:1], v[2:3]
	v_add_nc_u64_e32 v[0:1], s[4:5], v[0:1]
	s_add_co_i32 s8, s8, 1
	s_delay_alu instid0(SALU_CYCLE_1)
	s_cmp_eq_u32 s8, s12
	s_cbranch_scc1 .LBB7_23
.LBB7_21:                               ; =>This Loop Header: Depth=1
                                        ;     Child Loop BB7_22 Depth 2
	s_delay_alu instid0(VALU_DEP_1) | instskip(NEXT) | instid1(VALU_DEP_2)
	v_mov_b64_e32 v[4:5], v[0:1]
	v_mov_b64_e32 v[6:7], v[2:3]
	s_and_not1_b32 vcc_lo, exec_lo, s9
	s_mov_b32 s10, s14
	s_cbranch_vccnz .LBB7_20
.LBB7_22:                               ;   Parent Loop BB7_21 Depth=1
                                        ; =>  This Inner Loop Header: Depth=2
	global_load_u16 v8, v[4:5], off
	s_wait_xcnt 0x0
	v_add_nc_u64_e32 v[4:5], s[6:7], v[4:5]
	s_add_co_i32 s10, s10, -1
	s_delay_alu instid0(SALU_CYCLE_1)
	s_cmp_eq_u32 s10, 0
	s_wait_loadcnt 0x0
	global_store_b16 v[6:7], v8, off
	s_wait_xcnt 0x0
	v_add_nc_u64_e32 v[6:7], s[2:3], v[6:7]
	s_cbranch_scc0 .LBB7_22
	s_branch .LBB7_20
.LBB7_23:
	s_endpgm
	.section	.rodata,"a",@progbits
	.p2align	6, 0x0
	.amdhsa_kernel _ZN2at6native12_GLOBAL__N_136upsample_linear1d_out_frame_backwardIN3c108BFloat16EfEEviT0_bN5torch10headeronly6detail27GenericPackedTensorAccessorINS8_14TensorAccessorINS3_8ArrayRefIlEET_Lm2ENS7_16DefaultPtrTraitsElEENS_6detail16IndexBoundsCheckILm3ElEESD_Lm3ESE_lEENS9_INSA_ISC_KSD_Lm2ESE_lEESI_SK_Lm3ESE_lEE
		.amdhsa_group_segment_fixed_size 0
		.amdhsa_private_segment_fixed_size 0
		.amdhsa_kernarg_size 384
		.amdhsa_user_sgpr_count 2
		.amdhsa_user_sgpr_dispatch_ptr 0
		.amdhsa_user_sgpr_queue_ptr 0
		.amdhsa_user_sgpr_kernarg_segment_ptr 1
		.amdhsa_user_sgpr_dispatch_id 0
		.amdhsa_user_sgpr_kernarg_preload_length 0
		.amdhsa_user_sgpr_kernarg_preload_offset 0
		.amdhsa_user_sgpr_private_segment_size 0
		.amdhsa_wavefront_size32 1
		.amdhsa_uses_dynamic_stack 0
		.amdhsa_enable_private_segment 0
		.amdhsa_system_sgpr_workgroup_id_x 1
		.amdhsa_system_sgpr_workgroup_id_y 0
		.amdhsa_system_sgpr_workgroup_id_z 0
		.amdhsa_system_sgpr_workgroup_info 0
		.amdhsa_system_vgpr_workitem_id 0
		.amdhsa_next_free_vgpr 24
		.amdhsa_next_free_sgpr 24
		.amdhsa_named_barrier_count 0
		.amdhsa_reserve_vcc 1
		.amdhsa_float_round_mode_32 0
		.amdhsa_float_round_mode_16_64 0
		.amdhsa_float_denorm_mode_32 3
		.amdhsa_float_denorm_mode_16_64 3
		.amdhsa_fp16_overflow 0
		.amdhsa_memory_ordered 1
		.amdhsa_forward_progress 1
		.amdhsa_inst_pref_size 12
		.amdhsa_round_robin_scheduling 0
		.amdhsa_exception_fp_ieee_invalid_op 0
		.amdhsa_exception_fp_denorm_src 0
		.amdhsa_exception_fp_ieee_div_zero 0
		.amdhsa_exception_fp_ieee_overflow 0
		.amdhsa_exception_fp_ieee_underflow 0
		.amdhsa_exception_fp_ieee_inexact 0
		.amdhsa_exception_int_div_zero 0
	.end_amdhsa_kernel
	.section	.text._ZN2at6native12_GLOBAL__N_136upsample_linear1d_out_frame_backwardIN3c108BFloat16EfEEviT0_bN5torch10headeronly6detail27GenericPackedTensorAccessorINS8_14TensorAccessorINS3_8ArrayRefIlEET_Lm2ENS7_16DefaultPtrTraitsElEENS_6detail16IndexBoundsCheckILm3ElEESD_Lm3ESE_lEENS9_INSA_ISC_KSD_Lm2ESE_lEESI_SK_Lm3ESE_lEE,"axG",@progbits,_ZN2at6native12_GLOBAL__N_136upsample_linear1d_out_frame_backwardIN3c108BFloat16EfEEviT0_bN5torch10headeronly6detail27GenericPackedTensorAccessorINS8_14TensorAccessorINS3_8ArrayRefIlEET_Lm2ENS7_16DefaultPtrTraitsElEENS_6detail16IndexBoundsCheckILm3ElEESD_Lm3ESE_lEENS9_INSA_ISC_KSD_Lm2ESE_lEESI_SK_Lm3ESE_lEE,comdat
.Lfunc_end7:
	.size	_ZN2at6native12_GLOBAL__N_136upsample_linear1d_out_frame_backwardIN3c108BFloat16EfEEviT0_bN5torch10headeronly6detail27GenericPackedTensorAccessorINS8_14TensorAccessorINS3_8ArrayRefIlEET_Lm2ENS7_16DefaultPtrTraitsElEENS_6detail16IndexBoundsCheckILm3ElEESD_Lm3ESE_lEENS9_INSA_ISC_KSD_Lm2ESE_lEESI_SK_Lm3ESE_lEE, .Lfunc_end7-_ZN2at6native12_GLOBAL__N_136upsample_linear1d_out_frame_backwardIN3c108BFloat16EfEEviT0_bN5torch10headeronly6detail27GenericPackedTensorAccessorINS8_14TensorAccessorINS3_8ArrayRefIlEET_Lm2ENS7_16DefaultPtrTraitsElEENS_6detail16IndexBoundsCheckILm3ElEESD_Lm3ESE_lEENS9_INSA_ISC_KSD_Lm2ESE_lEESI_SK_Lm3ESE_lEE
                                        ; -- End function
	.set _ZN2at6native12_GLOBAL__N_136upsample_linear1d_out_frame_backwardIN3c108BFloat16EfEEviT0_bN5torch10headeronly6detail27GenericPackedTensorAccessorINS8_14TensorAccessorINS3_8ArrayRefIlEET_Lm2ENS7_16DefaultPtrTraitsElEENS_6detail16IndexBoundsCheckILm3ElEESD_Lm3ESE_lEENS9_INSA_ISC_KSD_Lm2ESE_lEESI_SK_Lm3ESE_lEE.num_vgpr, 24
	.set _ZN2at6native12_GLOBAL__N_136upsample_linear1d_out_frame_backwardIN3c108BFloat16EfEEviT0_bN5torch10headeronly6detail27GenericPackedTensorAccessorINS8_14TensorAccessorINS3_8ArrayRefIlEET_Lm2ENS7_16DefaultPtrTraitsElEENS_6detail16IndexBoundsCheckILm3ElEESD_Lm3ESE_lEENS9_INSA_ISC_KSD_Lm2ESE_lEESI_SK_Lm3ESE_lEE.num_agpr, 0
	.set _ZN2at6native12_GLOBAL__N_136upsample_linear1d_out_frame_backwardIN3c108BFloat16EfEEviT0_bN5torch10headeronly6detail27GenericPackedTensorAccessorINS8_14TensorAccessorINS3_8ArrayRefIlEET_Lm2ENS7_16DefaultPtrTraitsElEENS_6detail16IndexBoundsCheckILm3ElEESD_Lm3ESE_lEENS9_INSA_ISC_KSD_Lm2ESE_lEESI_SK_Lm3ESE_lEE.numbered_sgpr, 24
	.set _ZN2at6native12_GLOBAL__N_136upsample_linear1d_out_frame_backwardIN3c108BFloat16EfEEviT0_bN5torch10headeronly6detail27GenericPackedTensorAccessorINS8_14TensorAccessorINS3_8ArrayRefIlEET_Lm2ENS7_16DefaultPtrTraitsElEENS_6detail16IndexBoundsCheckILm3ElEESD_Lm3ESE_lEENS9_INSA_ISC_KSD_Lm2ESE_lEESI_SK_Lm3ESE_lEE.num_named_barrier, 0
	.set _ZN2at6native12_GLOBAL__N_136upsample_linear1d_out_frame_backwardIN3c108BFloat16EfEEviT0_bN5torch10headeronly6detail27GenericPackedTensorAccessorINS8_14TensorAccessorINS3_8ArrayRefIlEET_Lm2ENS7_16DefaultPtrTraitsElEENS_6detail16IndexBoundsCheckILm3ElEESD_Lm3ESE_lEENS9_INSA_ISC_KSD_Lm2ESE_lEESI_SK_Lm3ESE_lEE.private_seg_size, 0
	.set _ZN2at6native12_GLOBAL__N_136upsample_linear1d_out_frame_backwardIN3c108BFloat16EfEEviT0_bN5torch10headeronly6detail27GenericPackedTensorAccessorINS8_14TensorAccessorINS3_8ArrayRefIlEET_Lm2ENS7_16DefaultPtrTraitsElEENS_6detail16IndexBoundsCheckILm3ElEESD_Lm3ESE_lEENS9_INSA_ISC_KSD_Lm2ESE_lEESI_SK_Lm3ESE_lEE.uses_vcc, 1
	.set _ZN2at6native12_GLOBAL__N_136upsample_linear1d_out_frame_backwardIN3c108BFloat16EfEEviT0_bN5torch10headeronly6detail27GenericPackedTensorAccessorINS8_14TensorAccessorINS3_8ArrayRefIlEET_Lm2ENS7_16DefaultPtrTraitsElEENS_6detail16IndexBoundsCheckILm3ElEESD_Lm3ESE_lEENS9_INSA_ISC_KSD_Lm2ESE_lEESI_SK_Lm3ESE_lEE.uses_flat_scratch, 0
	.set _ZN2at6native12_GLOBAL__N_136upsample_linear1d_out_frame_backwardIN3c108BFloat16EfEEviT0_bN5torch10headeronly6detail27GenericPackedTensorAccessorINS8_14TensorAccessorINS3_8ArrayRefIlEET_Lm2ENS7_16DefaultPtrTraitsElEENS_6detail16IndexBoundsCheckILm3ElEESD_Lm3ESE_lEENS9_INSA_ISC_KSD_Lm2ESE_lEESI_SK_Lm3ESE_lEE.has_dyn_sized_stack, 0
	.set _ZN2at6native12_GLOBAL__N_136upsample_linear1d_out_frame_backwardIN3c108BFloat16EfEEviT0_bN5torch10headeronly6detail27GenericPackedTensorAccessorINS8_14TensorAccessorINS3_8ArrayRefIlEET_Lm2ENS7_16DefaultPtrTraitsElEENS_6detail16IndexBoundsCheckILm3ElEESD_Lm3ESE_lEENS9_INSA_ISC_KSD_Lm2ESE_lEESI_SK_Lm3ESE_lEE.has_recursion, 0
	.set _ZN2at6native12_GLOBAL__N_136upsample_linear1d_out_frame_backwardIN3c108BFloat16EfEEviT0_bN5torch10headeronly6detail27GenericPackedTensorAccessorINS8_14TensorAccessorINS3_8ArrayRefIlEET_Lm2ENS7_16DefaultPtrTraitsElEENS_6detail16IndexBoundsCheckILm3ElEESD_Lm3ESE_lEENS9_INSA_ISC_KSD_Lm2ESE_lEESI_SK_Lm3ESE_lEE.has_indirect_call, 0
	.section	.AMDGPU.csdata,"",@progbits
; Kernel info:
; codeLenInByte = 1464
; TotalNumSgprs: 26
; NumVgprs: 24
; ScratchSize: 0
; MemoryBound: 0
; FloatMode: 240
; IeeeMode: 1
; LDSByteSize: 0 bytes/workgroup (compile time only)
; SGPRBlocks: 0
; VGPRBlocks: 1
; NumSGPRsForWavesPerEU: 26
; NumVGPRsForWavesPerEU: 24
; NamedBarCnt: 0
; Occupancy: 16
; WaveLimiterHint : 1
; COMPUTE_PGM_RSRC2:SCRATCH_EN: 0
; COMPUTE_PGM_RSRC2:USER_SGPR: 2
; COMPUTE_PGM_RSRC2:TRAP_HANDLER: 0
; COMPUTE_PGM_RSRC2:TGID_X_EN: 1
; COMPUTE_PGM_RSRC2:TGID_Y_EN: 0
; COMPUTE_PGM_RSRC2:TGID_Z_EN: 0
; COMPUTE_PGM_RSRC2:TIDIG_COMP_CNT: 0
	.section	.AMDGPU.gpr_maximums,"",@progbits
	.set amdgpu.max_num_vgpr, 0
	.set amdgpu.max_num_agpr, 0
	.set amdgpu.max_num_sgpr, 0
	.section	.AMDGPU.csdata,"",@progbits
	.type	__hip_cuid_5710372822349b72,@object ; @__hip_cuid_5710372822349b72
	.section	.bss,"aw",@nobits
	.globl	__hip_cuid_5710372822349b72
__hip_cuid_5710372822349b72:
	.byte	0                               ; 0x0
	.size	__hip_cuid_5710372822349b72, 1

	.ident	"AMD clang version 22.0.0git (https://github.com/RadeonOpenCompute/llvm-project roc-7.2.4 26084 f58b06dce1f9c15707c5f808fd002e18c2accf7e)"
	.section	".note.GNU-stack","",@progbits
	.addrsig
	.addrsig_sym __hip_cuid_5710372822349b72
	.amdgpu_metadata
---
amdhsa.kernels:
  - .args:
      - .offset:         0
        .size:           4
        .value_kind:     by_value
      - .offset:         8
        .size:           8
        .value_kind:     by_value
      - .offset:         16
        .size:           1
        .value_kind:     by_value
      - .offset:         24
        .size:           56
        .value_kind:     by_value
      - .offset:         80
        .size:           56
        .value_kind:     by_value
      - .offset:         136
        .size:           4
        .value_kind:     hidden_block_count_x
      - .offset:         140
        .size:           4
        .value_kind:     hidden_block_count_y
      - .offset:         144
        .size:           4
        .value_kind:     hidden_block_count_z
      - .offset:         148
        .size:           2
        .value_kind:     hidden_group_size_x
      - .offset:         150
        .size:           2
        .value_kind:     hidden_group_size_y
      - .offset:         152
        .size:           2
        .value_kind:     hidden_group_size_z
      - .offset:         154
        .size:           2
        .value_kind:     hidden_remainder_x
      - .offset:         156
        .size:           2
        .value_kind:     hidden_remainder_y
      - .offset:         158
        .size:           2
        .value_kind:     hidden_remainder_z
      - .offset:         176
        .size:           8
        .value_kind:     hidden_global_offset_x
      - .offset:         184
        .size:           8
        .value_kind:     hidden_global_offset_y
      - .offset:         192
        .size:           8
        .value_kind:     hidden_global_offset_z
      - .offset:         200
        .size:           2
        .value_kind:     hidden_grid_dims
    .group_segment_fixed_size: 0
    .kernarg_segment_align: 8
    .kernarg_segment_size: 392
    .language:       OpenCL C
    .language_version:
      - 2
      - 0
    .max_flat_workgroup_size: 512
    .name:           _ZN2at6native12_GLOBAL__N_127upsample_linear1d_out_frameIddEEviT0_bN5torch10headeronly6detail27GenericPackedTensorAccessorINS6_14TensorAccessorIN3c108ArrayRefIlEEKT_Lm2ENS5_16DefaultPtrTraitsElEENS_6detail16IndexBoundsCheckILm3ElEESD_Lm3ESE_lEENS7_INS8_ISB_SC_Lm2ESE_lEESI_SC_Lm3ESE_lEE
    .private_segment_fixed_size: 0
    .sgpr_count:     24
    .sgpr_spill_count: 0
    .symbol:         _ZN2at6native12_GLOBAL__N_127upsample_linear1d_out_frameIddEEviT0_bN5torch10headeronly6detail27GenericPackedTensorAccessorINS6_14TensorAccessorIN3c108ArrayRefIlEEKT_Lm2ENS5_16DefaultPtrTraitsElEENS_6detail16IndexBoundsCheckILm3ElEESD_Lm3ESE_lEENS7_INS8_ISB_SC_Lm2ESE_lEESI_SC_Lm3ESE_lEE.kd
    .uniform_work_group_size: 1
    .uses_dynamic_stack: false
    .vgpr_count:     18
    .vgpr_spill_count: 0
    .wavefront_size: 32
  - .args:
      - .offset:         0
        .size:           4
        .value_kind:     by_value
      - .offset:         4
        .size:           4
        .value_kind:     by_value
      - .offset:         8
        .size:           1
        .value_kind:     by_value
      - .offset:         16
        .size:           56
        .value_kind:     by_value
      - .offset:         72
        .size:           56
        .value_kind:     by_value
      - .offset:         128
        .size:           4
        .value_kind:     hidden_block_count_x
      - .offset:         132
        .size:           4
        .value_kind:     hidden_block_count_y
      - .offset:         136
        .size:           4
        .value_kind:     hidden_block_count_z
      - .offset:         140
        .size:           2
        .value_kind:     hidden_group_size_x
      - .offset:         142
        .size:           2
        .value_kind:     hidden_group_size_y
      - .offset:         144
        .size:           2
        .value_kind:     hidden_group_size_z
      - .offset:         146
        .size:           2
        .value_kind:     hidden_remainder_x
      - .offset:         148
        .size:           2
        .value_kind:     hidden_remainder_y
      - .offset:         150
        .size:           2
        .value_kind:     hidden_remainder_z
      - .offset:         168
        .size:           8
        .value_kind:     hidden_global_offset_x
      - .offset:         176
        .size:           8
        .value_kind:     hidden_global_offset_y
      - .offset:         184
        .size:           8
        .value_kind:     hidden_global_offset_z
      - .offset:         192
        .size:           2
        .value_kind:     hidden_grid_dims
    .group_segment_fixed_size: 0
    .kernarg_segment_align: 8
    .kernarg_segment_size: 384
    .language:       OpenCL C
    .language_version:
      - 2
      - 0
    .max_flat_workgroup_size: 512
    .name:           _ZN2at6native12_GLOBAL__N_127upsample_linear1d_out_frameIffEEviT0_bN5torch10headeronly6detail27GenericPackedTensorAccessorINS6_14TensorAccessorIN3c108ArrayRefIlEEKT_Lm2ENS5_16DefaultPtrTraitsElEENS_6detail16IndexBoundsCheckILm3ElEESD_Lm3ESE_lEENS7_INS8_ISB_SC_Lm2ESE_lEESI_SC_Lm3ESE_lEE
    .private_segment_fixed_size: 0
    .sgpr_count:     24
    .sgpr_spill_count: 0
    .symbol:         _ZN2at6native12_GLOBAL__N_127upsample_linear1d_out_frameIffEEviT0_bN5torch10headeronly6detail27GenericPackedTensorAccessorINS6_14TensorAccessorIN3c108ArrayRefIlEEKT_Lm2ENS5_16DefaultPtrTraitsElEENS_6detail16IndexBoundsCheckILm3ElEESD_Lm3ESE_lEENS7_INS8_ISB_SC_Lm2ESE_lEESI_SC_Lm3ESE_lEE.kd
    .uniform_work_group_size: 1
    .uses_dynamic_stack: false
    .vgpr_count:     18
    .vgpr_spill_count: 0
    .wavefront_size: 32
  - .args:
      - .offset:         0
        .size:           4
        .value_kind:     by_value
      - .offset:         4
        .size:           4
        .value_kind:     by_value
      - .offset:         8
        .size:           1
        .value_kind:     by_value
      - .offset:         16
        .size:           56
        .value_kind:     by_value
      - .offset:         72
        .size:           56
        .value_kind:     by_value
      - .offset:         128
        .size:           4
        .value_kind:     hidden_block_count_x
      - .offset:         132
        .size:           4
        .value_kind:     hidden_block_count_y
      - .offset:         136
        .size:           4
        .value_kind:     hidden_block_count_z
      - .offset:         140
        .size:           2
        .value_kind:     hidden_group_size_x
      - .offset:         142
        .size:           2
        .value_kind:     hidden_group_size_y
      - .offset:         144
        .size:           2
        .value_kind:     hidden_group_size_z
      - .offset:         146
        .size:           2
        .value_kind:     hidden_remainder_x
      - .offset:         148
        .size:           2
        .value_kind:     hidden_remainder_y
      - .offset:         150
        .size:           2
        .value_kind:     hidden_remainder_z
      - .offset:         168
        .size:           8
        .value_kind:     hidden_global_offset_x
      - .offset:         176
        .size:           8
        .value_kind:     hidden_global_offset_y
      - .offset:         184
        .size:           8
        .value_kind:     hidden_global_offset_z
      - .offset:         192
        .size:           2
        .value_kind:     hidden_grid_dims
    .group_segment_fixed_size: 0
    .kernarg_segment_align: 8
    .kernarg_segment_size: 384
    .language:       OpenCL C
    .language_version:
      - 2
      - 0
    .max_flat_workgroup_size: 512
    .name:           _ZN2at6native12_GLOBAL__N_127upsample_linear1d_out_frameIN3c104HalfEfEEviT0_bN5torch10headeronly6detail27GenericPackedTensorAccessorINS8_14TensorAccessorINS3_8ArrayRefIlEEKT_Lm2ENS7_16DefaultPtrTraitsElEENS_6detail16IndexBoundsCheckILm3ElEESE_Lm3ESF_lEENS9_INSA_ISC_SD_Lm2ESF_lEESJ_SD_Lm3ESF_lEE
    .private_segment_fixed_size: 0
    .sgpr_count:     24
    .sgpr_spill_count: 0
    .symbol:         _ZN2at6native12_GLOBAL__N_127upsample_linear1d_out_frameIN3c104HalfEfEEviT0_bN5torch10headeronly6detail27GenericPackedTensorAccessorINS8_14TensorAccessorINS3_8ArrayRefIlEEKT_Lm2ENS7_16DefaultPtrTraitsElEENS_6detail16IndexBoundsCheckILm3ElEESE_Lm3ESF_lEENS9_INSA_ISC_SD_Lm2ESF_lEESJ_SD_Lm3ESF_lEE.kd
    .uniform_work_group_size: 1
    .uses_dynamic_stack: false
    .vgpr_count:     14
    .vgpr_spill_count: 0
    .wavefront_size: 32
  - .args:
      - .offset:         0
        .size:           4
        .value_kind:     by_value
      - .offset:         4
        .size:           4
        .value_kind:     by_value
      - .offset:         8
        .size:           1
        .value_kind:     by_value
      - .offset:         16
        .size:           56
        .value_kind:     by_value
      - .offset:         72
        .size:           56
        .value_kind:     by_value
      - .offset:         128
        .size:           4
        .value_kind:     hidden_block_count_x
      - .offset:         132
        .size:           4
        .value_kind:     hidden_block_count_y
      - .offset:         136
        .size:           4
        .value_kind:     hidden_block_count_z
      - .offset:         140
        .size:           2
        .value_kind:     hidden_group_size_x
      - .offset:         142
        .size:           2
        .value_kind:     hidden_group_size_y
      - .offset:         144
        .size:           2
        .value_kind:     hidden_group_size_z
      - .offset:         146
        .size:           2
        .value_kind:     hidden_remainder_x
      - .offset:         148
        .size:           2
        .value_kind:     hidden_remainder_y
      - .offset:         150
        .size:           2
        .value_kind:     hidden_remainder_z
      - .offset:         168
        .size:           8
        .value_kind:     hidden_global_offset_x
      - .offset:         176
        .size:           8
        .value_kind:     hidden_global_offset_y
      - .offset:         184
        .size:           8
        .value_kind:     hidden_global_offset_z
      - .offset:         192
        .size:           2
        .value_kind:     hidden_grid_dims
    .group_segment_fixed_size: 0
    .kernarg_segment_align: 8
    .kernarg_segment_size: 384
    .language:       OpenCL C
    .language_version:
      - 2
      - 0
    .max_flat_workgroup_size: 512
    .name:           _ZN2at6native12_GLOBAL__N_127upsample_linear1d_out_frameIN3c108BFloat16EfEEviT0_bN5torch10headeronly6detail27GenericPackedTensorAccessorINS8_14TensorAccessorINS3_8ArrayRefIlEEKT_Lm2ENS7_16DefaultPtrTraitsElEENS_6detail16IndexBoundsCheckILm3ElEESE_Lm3ESF_lEENS9_INSA_ISC_SD_Lm2ESF_lEESJ_SD_Lm3ESF_lEE
    .private_segment_fixed_size: 0
    .sgpr_count:     24
    .sgpr_spill_count: 0
    .symbol:         _ZN2at6native12_GLOBAL__N_127upsample_linear1d_out_frameIN3c108BFloat16EfEEviT0_bN5torch10headeronly6detail27GenericPackedTensorAccessorINS8_14TensorAccessorINS3_8ArrayRefIlEEKT_Lm2ENS7_16DefaultPtrTraitsElEENS_6detail16IndexBoundsCheckILm3ElEESE_Lm3ESF_lEENS9_INSA_ISC_SD_Lm2ESF_lEESJ_SD_Lm3ESF_lEE.kd
    .uniform_work_group_size: 1
    .uses_dynamic_stack: false
    .vgpr_count:     17
    .vgpr_spill_count: 0
    .wavefront_size: 32
  - .args:
      - .offset:         0
        .size:           4
        .value_kind:     by_value
      - .offset:         8
        .size:           8
        .value_kind:     by_value
      - .offset:         16
        .size:           1
        .value_kind:     by_value
      - .offset:         24
        .size:           56
        .value_kind:     by_value
      - .offset:         80
        .size:           56
        .value_kind:     by_value
      - .offset:         136
        .size:           4
        .value_kind:     hidden_block_count_x
      - .offset:         140
        .size:           4
        .value_kind:     hidden_block_count_y
      - .offset:         144
        .size:           4
        .value_kind:     hidden_block_count_z
      - .offset:         148
        .size:           2
        .value_kind:     hidden_group_size_x
      - .offset:         150
        .size:           2
        .value_kind:     hidden_group_size_y
      - .offset:         152
        .size:           2
        .value_kind:     hidden_group_size_z
      - .offset:         154
        .size:           2
        .value_kind:     hidden_remainder_x
      - .offset:         156
        .size:           2
        .value_kind:     hidden_remainder_y
      - .offset:         158
        .size:           2
        .value_kind:     hidden_remainder_z
      - .offset:         176
        .size:           8
        .value_kind:     hidden_global_offset_x
      - .offset:         184
        .size:           8
        .value_kind:     hidden_global_offset_y
      - .offset:         192
        .size:           8
        .value_kind:     hidden_global_offset_z
      - .offset:         200
        .size:           2
        .value_kind:     hidden_grid_dims
    .group_segment_fixed_size: 0
    .kernarg_segment_align: 8
    .kernarg_segment_size: 392
    .language:       OpenCL C
    .language_version:
      - 2
      - 0
    .max_flat_workgroup_size: 512
    .name:           _ZN2at6native12_GLOBAL__N_136upsample_linear1d_out_frame_backwardIddEEviT0_bN5torch10headeronly6detail27GenericPackedTensorAccessorINS6_14TensorAccessorIN3c108ArrayRefIlEET_Lm2ENS5_16DefaultPtrTraitsElEENS_6detail16IndexBoundsCheckILm3ElEESC_Lm3ESD_lEENS7_INS8_ISB_KSC_Lm2ESD_lEESH_SJ_Lm3ESD_lEE
    .private_segment_fixed_size: 0
    .sgpr_count:     24
    .sgpr_spill_count: 0
    .symbol:         _ZN2at6native12_GLOBAL__N_136upsample_linear1d_out_frame_backwardIddEEviT0_bN5torch10headeronly6detail27GenericPackedTensorAccessorINS6_14TensorAccessorIN3c108ArrayRefIlEET_Lm2ENS5_16DefaultPtrTraitsElEENS_6detail16IndexBoundsCheckILm3ElEESC_Lm3ESD_lEENS7_INS8_ISB_KSC_Lm2ESD_lEESH_SJ_Lm3ESD_lEE.kd
    .uniform_work_group_size: 1
    .uses_dynamic_stack: false
    .vgpr_count:     22
    .vgpr_spill_count: 0
    .wavefront_size: 32
  - .args:
      - .offset:         0
        .size:           4
        .value_kind:     by_value
      - .offset:         4
        .size:           4
        .value_kind:     by_value
      - .offset:         8
        .size:           1
        .value_kind:     by_value
      - .offset:         16
        .size:           56
        .value_kind:     by_value
      - .offset:         72
        .size:           56
        .value_kind:     by_value
      - .offset:         128
        .size:           4
        .value_kind:     hidden_block_count_x
      - .offset:         132
        .size:           4
        .value_kind:     hidden_block_count_y
      - .offset:         136
        .size:           4
        .value_kind:     hidden_block_count_z
      - .offset:         140
        .size:           2
        .value_kind:     hidden_group_size_x
      - .offset:         142
        .size:           2
        .value_kind:     hidden_group_size_y
      - .offset:         144
        .size:           2
        .value_kind:     hidden_group_size_z
      - .offset:         146
        .size:           2
        .value_kind:     hidden_remainder_x
      - .offset:         148
        .size:           2
        .value_kind:     hidden_remainder_y
      - .offset:         150
        .size:           2
        .value_kind:     hidden_remainder_z
      - .offset:         168
        .size:           8
        .value_kind:     hidden_global_offset_x
      - .offset:         176
        .size:           8
        .value_kind:     hidden_global_offset_y
      - .offset:         184
        .size:           8
        .value_kind:     hidden_global_offset_z
      - .offset:         192
        .size:           2
        .value_kind:     hidden_grid_dims
    .group_segment_fixed_size: 0
    .kernarg_segment_align: 8
    .kernarg_segment_size: 384
    .language:       OpenCL C
    .language_version:
      - 2
      - 0
    .max_flat_workgroup_size: 512
    .name:           _ZN2at6native12_GLOBAL__N_136upsample_linear1d_out_frame_backwardIffEEviT0_bN5torch10headeronly6detail27GenericPackedTensorAccessorINS6_14TensorAccessorIN3c108ArrayRefIlEET_Lm2ENS5_16DefaultPtrTraitsElEENS_6detail16IndexBoundsCheckILm3ElEESC_Lm3ESD_lEENS7_INS8_ISB_KSC_Lm2ESD_lEESH_SJ_Lm3ESD_lEE
    .private_segment_fixed_size: 0
    .sgpr_count:     24
    .sgpr_spill_count: 0
    .symbol:         _ZN2at6native12_GLOBAL__N_136upsample_linear1d_out_frame_backwardIffEEviT0_bN5torch10headeronly6detail27GenericPackedTensorAccessorINS6_14TensorAccessorIN3c108ArrayRefIlEET_Lm2ENS5_16DefaultPtrTraitsElEENS_6detail16IndexBoundsCheckILm3ElEESC_Lm3ESD_lEENS7_INS8_ISB_KSC_Lm2ESD_lEESH_SJ_Lm3ESD_lEE.kd
    .uniform_work_group_size: 1
    .uses_dynamic_stack: false
    .vgpr_count:     17
    .vgpr_spill_count: 0
    .wavefront_size: 32
  - .args:
      - .offset:         0
        .size:           4
        .value_kind:     by_value
      - .offset:         4
        .size:           4
        .value_kind:     by_value
      - .offset:         8
        .size:           1
        .value_kind:     by_value
      - .offset:         16
        .size:           56
        .value_kind:     by_value
      - .offset:         72
        .size:           56
        .value_kind:     by_value
      - .offset:         128
        .size:           4
        .value_kind:     hidden_block_count_x
      - .offset:         132
        .size:           4
        .value_kind:     hidden_block_count_y
      - .offset:         136
        .size:           4
        .value_kind:     hidden_block_count_z
      - .offset:         140
        .size:           2
        .value_kind:     hidden_group_size_x
      - .offset:         142
        .size:           2
        .value_kind:     hidden_group_size_y
      - .offset:         144
        .size:           2
        .value_kind:     hidden_group_size_z
      - .offset:         146
        .size:           2
        .value_kind:     hidden_remainder_x
      - .offset:         148
        .size:           2
        .value_kind:     hidden_remainder_y
      - .offset:         150
        .size:           2
        .value_kind:     hidden_remainder_z
      - .offset:         168
        .size:           8
        .value_kind:     hidden_global_offset_x
      - .offset:         176
        .size:           8
        .value_kind:     hidden_global_offset_y
      - .offset:         184
        .size:           8
        .value_kind:     hidden_global_offset_z
      - .offset:         192
        .size:           2
        .value_kind:     hidden_grid_dims
    .group_segment_fixed_size: 0
    .kernarg_segment_align: 8
    .kernarg_segment_size: 384
    .language:       OpenCL C
    .language_version:
      - 2
      - 0
    .max_flat_workgroup_size: 512
    .name:           _ZN2at6native12_GLOBAL__N_136upsample_linear1d_out_frame_backwardIN3c104HalfEfEEviT0_bN5torch10headeronly6detail27GenericPackedTensorAccessorINS8_14TensorAccessorINS3_8ArrayRefIlEET_Lm2ENS7_16DefaultPtrTraitsElEENS_6detail16IndexBoundsCheckILm3ElEESD_Lm3ESE_lEENS9_INSA_ISC_KSD_Lm2ESE_lEESI_SK_Lm3ESE_lEE
    .private_segment_fixed_size: 0
    .sgpr_count:     24
    .sgpr_spill_count: 0
    .symbol:         _ZN2at6native12_GLOBAL__N_136upsample_linear1d_out_frame_backwardIN3c104HalfEfEEviT0_bN5torch10headeronly6detail27GenericPackedTensorAccessorINS8_14TensorAccessorINS3_8ArrayRefIlEET_Lm2ENS7_16DefaultPtrTraitsElEENS_6detail16IndexBoundsCheckILm3ElEESD_Lm3ESE_lEENS9_INSA_ISC_KSD_Lm2ESE_lEESI_SK_Lm3ESE_lEE.kd
    .uniform_work_group_size: 1
    .uses_dynamic_stack: false
    .vgpr_count:     24
    .vgpr_spill_count: 0
    .wavefront_size: 32
  - .args:
      - .offset:         0
        .size:           4
        .value_kind:     by_value
      - .offset:         4
        .size:           4
        .value_kind:     by_value
      - .offset:         8
        .size:           1
        .value_kind:     by_value
      - .offset:         16
        .size:           56
        .value_kind:     by_value
      - .offset:         72
        .size:           56
        .value_kind:     by_value
      - .offset:         128
        .size:           4
        .value_kind:     hidden_block_count_x
      - .offset:         132
        .size:           4
        .value_kind:     hidden_block_count_y
      - .offset:         136
        .size:           4
        .value_kind:     hidden_block_count_z
      - .offset:         140
        .size:           2
        .value_kind:     hidden_group_size_x
      - .offset:         142
        .size:           2
        .value_kind:     hidden_group_size_y
      - .offset:         144
        .size:           2
        .value_kind:     hidden_group_size_z
      - .offset:         146
        .size:           2
        .value_kind:     hidden_remainder_x
      - .offset:         148
        .size:           2
        .value_kind:     hidden_remainder_y
      - .offset:         150
        .size:           2
        .value_kind:     hidden_remainder_z
      - .offset:         168
        .size:           8
        .value_kind:     hidden_global_offset_x
      - .offset:         176
        .size:           8
        .value_kind:     hidden_global_offset_y
      - .offset:         184
        .size:           8
        .value_kind:     hidden_global_offset_z
      - .offset:         192
        .size:           2
        .value_kind:     hidden_grid_dims
    .group_segment_fixed_size: 0
    .kernarg_segment_align: 8
    .kernarg_segment_size: 384
    .language:       OpenCL C
    .language_version:
      - 2
      - 0
    .max_flat_workgroup_size: 512
    .name:           _ZN2at6native12_GLOBAL__N_136upsample_linear1d_out_frame_backwardIN3c108BFloat16EfEEviT0_bN5torch10headeronly6detail27GenericPackedTensorAccessorINS8_14TensorAccessorINS3_8ArrayRefIlEET_Lm2ENS7_16DefaultPtrTraitsElEENS_6detail16IndexBoundsCheckILm3ElEESD_Lm3ESE_lEENS9_INSA_ISC_KSD_Lm2ESE_lEESI_SK_Lm3ESE_lEE
    .private_segment_fixed_size: 0
    .sgpr_count:     26
    .sgpr_spill_count: 0
    .symbol:         _ZN2at6native12_GLOBAL__N_136upsample_linear1d_out_frame_backwardIN3c108BFloat16EfEEviT0_bN5torch10headeronly6detail27GenericPackedTensorAccessorINS8_14TensorAccessorINS3_8ArrayRefIlEET_Lm2ENS7_16DefaultPtrTraitsElEENS_6detail16IndexBoundsCheckILm3ElEESD_Lm3ESE_lEENS9_INSA_ISC_KSD_Lm2ESE_lEESI_SK_Lm3ESE_lEE.kd
    .uniform_work_group_size: 1
    .uses_dynamic_stack: false
    .vgpr_count:     24
    .vgpr_spill_count: 0
    .wavefront_size: 32
amdhsa.target:   amdgcn-amd-amdhsa--gfx1250
amdhsa.version:
  - 1
  - 2
...

	.end_amdgpu_metadata
